;; amdgpu-corpus repo=ROCm/rocFFT kind=compiled arch=gfx1100 opt=O3
	.text
	.amdgcn_target "amdgcn-amd-amdhsa--gfx1100"
	.amdhsa_code_object_version 6
	.protected	bluestein_single_back_len1014_dim1_dp_op_CI_CI ; -- Begin function bluestein_single_back_len1014_dim1_dp_op_CI_CI
	.globl	bluestein_single_back_len1014_dim1_dp_op_CI_CI
	.p2align	8
	.type	bluestein_single_back_len1014_dim1_dp_op_CI_CI,@function
bluestein_single_back_len1014_dim1_dp_op_CI_CI: ; @bluestein_single_back_len1014_dim1_dp_op_CI_CI
; %bb.0:
	s_load_b128 s[16:19], s[0:1], 0x28
	v_mul_u32_u24_e32 v1, 0x349, v0
	v_mov_b32_e32 v8, 0
	s_mov_b32 s2, exec_lo
	s_delay_alu instid0(VALU_DEP_2) | instskip(NEXT) | instid1(VALU_DEP_1)
	v_lshrrev_b32_e32 v1, 16, v1
	v_lshl_add_u32 v7, s15, 1, v1
	s_waitcnt lgkmcnt(0)
	s_delay_alu instid0(VALU_DEP_1)
	v_cmpx_gt_u64_e64 s[16:17], v[7:8]
	s_cbranch_execz .LBB0_10
; %bb.1:
	s_clause 0x1
	s_load_b128 s[4:7], s[0:1], 0x18
	s_load_b128 s[8:11], s[0:1], 0x0
	v_mul_lo_u16 v2, 0x4e, v1
	s_mov_b32 s26, 0x42a4c3d2
	s_mov_b32 s24, 0x66966769
	;; [unrolled: 1-line block ×4, first 2 shown]
	v_sub_nc_u16 v24, v0, v2
	s_mov_b32 s31, 0xbfddbe06
	s_mov_b32 s30, 0x4267c47c
	;; [unrolled: 1-line block ×4, first 2 shown]
	v_and_b32_e32 v200, 0xffff, v24
	s_mov_b32 s23, 0xbfedeba7
	s_mov_b32 s21, 0xbfe5384d
	;; [unrolled: 1-line block ×7, first 2 shown]
	s_waitcnt lgkmcnt(0)
	s_load_b128 s[12:15], s[4:5], 0x0
	s_mov_b32 s36, s20
	s_mov_b32 s35, 0x3fefc445
	;; [unrolled: 1-line block ×5, first 2 shown]
	s_waitcnt lgkmcnt(0)
	v_mad_u64_u32 v[2:3], null, s14, v7, 0
	v_mad_u64_u32 v[4:5], null, s12, v200, 0
	s_mul_i32 s3, s13, 0x4e0
	s_mul_hi_u32 s4, s12, 0x4e0
	s_mul_i32 s2, s12, 0x4e0
	s_add_i32 s3, s4, s3
	s_delay_alu instid0(VALU_DEP_1)
	v_dual_mov_b32 v0, v3 :: v_dual_mov_b32 v3, v5
	v_mov_b32_e32 v5, v7
	scratch_store_b64 off, v[5:6], off offset:84 ; 8-byte Folded Spill
	v_mad_u64_u32 v[5:6], null, s15, v7, v[0:1]
	v_lshlrev_b32_e32 v0, 4, v200
	v_mad_u64_u32 v[6:7], null, s13, v200, v[3:4]
	v_and_b32_e32 v1, 1, v1
	s_mov_b32 s14, 0x4bc48dbf
	s_delay_alu instid0(VALU_DEP_3) | instskip(SKIP_4) | instid1(VALU_DEP_3)
	v_add_co_u32 v50, s4, s8, v0
	v_mov_b32_e32 v3, v5
	v_add_co_ci_u32_e64 v238, null, s9, 0, s4
	v_mov_b32_e32 v5, v6
	s_mov_b32 s15, 0xbfcea1e5
	v_lshlrev_b64 v[2:3], 4, v[2:3]
	s_mov_b32 s12, 0xb2365da1
	s_mov_b32 s13, 0xbfd6b1d8
	v_lshlrev_b64 v[4:5], 4, v[4:5]
	s_delay_alu instid0(VALU_DEP_2) | instskip(NEXT) | instid1(VALU_DEP_3)
	v_add_co_u32 v2, vcc_lo, s18, v2
	v_add_co_ci_u32_e32 v3, vcc_lo, s19, v3, vcc_lo
	s_mov_b32 s18, 0x1ea71119
	s_delay_alu instid0(VALU_DEP_2) | instskip(NEXT) | instid1(VALU_DEP_2)
	v_add_co_u32 v2, vcc_lo, v2, v4
	v_add_co_ci_u32_e32 v3, vcc_lo, v3, v5, vcc_lo
	s_mov_b32 s19, 0x3fe22d96
	s_delay_alu instid0(VALU_DEP_2) | instskip(NEXT) | instid1(VALU_DEP_2)
	v_add_co_u32 v10, vcc_lo, v2, s2
	v_add_co_ci_u32_e32 v11, vcc_lo, s3, v3, vcc_lo
	global_load_b128 v[2:5], v[2:3], off
	s_clause 0x1
	global_load_b128 v[29:32], v0, s[8:9]
	global_load_b128 v[25:28], v0, s[8:9] offset:1248
	global_load_b128 v[6:9], v[10:11], off
	v_add_co_u32 v14, vcc_lo, v10, s2
	v_add_co_ci_u32_e32 v15, vcc_lo, s3, v11, vcc_lo
	global_load_b128 v[10:13], v[14:15], off
	global_load_b128 v[33:36], v0, s[8:9] offset:2496
	s_waitcnt vmcnt(4)
	v_mul_f64 v[16:17], v[4:5], v[31:32]
	v_mul_f64 v[18:19], v[2:3], v[31:32]
	s_waitcnt vmcnt(2)
	v_mul_f64 v[20:21], v[8:9], v[27:28]
	v_mul_f64 v[22:23], v[6:7], v[27:28]
	s_clause 0x1
	scratch_store_b128 off, v[29:32], off offset:108
	scratch_store_b128 off, v[25:28], off offset:92
	v_fma_f64 v[2:3], v[2:3], v[29:30], v[16:17]
	s_waitcnt vmcnt(0)
	v_mul_f64 v[16:17], v[12:13], v[35:36]
	v_fma_f64 v[6:7], v[6:7], v[25:26], v[20:21]
	v_add_co_u32 v20, vcc_lo, v14, s2
	v_add_co_ci_u32_e32 v21, vcc_lo, s3, v15, vcc_lo
	v_fma_f64 v[4:5], v[4:5], v[29:30], -v[18:19]
	global_load_b128 v[29:32], v0, s[8:9] offset:3744
	v_mul_f64 v[18:19], v[10:11], v[35:36]
	v_fma_f64 v[8:9], v[8:9], v[25:26], -v[22:23]
	v_add_co_u32 v22, vcc_lo, v20, s2
	v_add_co_ci_u32_e32 v23, vcc_lo, s3, v21, vcc_lo
	scratch_store_b128 off, v[33:36], off offset:124 ; 16-byte Folded Spill
	s_mov_b32 s8, 0xd0032e0c
	s_mov_b32 s9, 0xbfe7f3cc
	v_fma_f64 v[10:11], v[10:11], v[33:34], v[16:17]
	global_load_b128 v[14:17], v[20:21], off
	v_fma_f64 v[12:13], v[12:13], v[33:34], -v[18:19]
	global_load_b128 v[18:21], v[22:23], off
	s_waitcnt vmcnt(2)
	scratch_store_b128 off, v[29:32], off offset:140 ; 16-byte Folded Spill
	s_waitcnt vmcnt(1)
	v_mul_f64 v[25:26], v[16:17], v[31:32]
	v_mul_f64 v[27:28], v[14:15], v[31:32]
	s_delay_alu instid0(VALU_DEP_2) | instskip(NEXT) | instid1(VALU_DEP_2)
	v_fma_f64 v[14:15], v[14:15], v[29:30], v[25:26]
	v_fma_f64 v[16:17], v[16:17], v[29:30], -v[27:28]
	v_add_co_u32 v29, vcc_lo, 0x1000, v50
	v_add_co_ci_u32_e32 v30, vcc_lo, 0, v238, vcc_lo
	s_clause 0x1
	global_load_b128 v[31:34], v[29:30], off offset:896
	global_load_b128 v[35:38], v[29:30], off offset:2144
	v_add_co_u32 v22, vcc_lo, v22, s2
	v_add_co_ci_u32_e32 v23, vcc_lo, s3, v23, vcc_lo
	s_waitcnt vmcnt(1)
	v_mul_f64 v[25:26], v[20:21], v[33:34]
	v_mul_f64 v[27:28], v[18:19], v[33:34]
	scratch_store_b128 off, v[31:34], off offset:156 ; 16-byte Folded Spill
	s_waitcnt vmcnt(0)
	scratch_store_b128 off, v[35:38], off offset:172 ; 16-byte Folded Spill
	v_fma_f64 v[18:19], v[18:19], v[31:32], v[25:26]
	v_fma_f64 v[20:21], v[20:21], v[31:32], -v[27:28]
	global_load_b128 v[25:28], v[22:23], off
	v_add_co_u32 v22, vcc_lo, v22, s2
	v_add_co_ci_u32_e32 v23, vcc_lo, s3, v23, vcc_lo
	s_waitcnt vmcnt(0)
	v_mul_f64 v[31:32], v[27:28], v[37:38]
	v_mul_f64 v[33:34], v[25:26], v[37:38]
	s_delay_alu instid0(VALU_DEP_2)
	v_fma_f64 v[25:26], v[25:26], v[35:36], v[31:32]
	global_load_b128 v[37:40], v[29:30], off offset:3392
	global_load_b128 v[29:32], v[22:23], off
	v_fma_f64 v[27:28], v[27:28], v[35:36], -v[33:34]
	v_add_co_u32 v22, vcc_lo, v22, s2
	v_add_co_ci_u32_e32 v23, vcc_lo, s3, v23, vcc_lo
	v_add_co_u32 v41, vcc_lo, 0x2000, v50
	v_add_co_ci_u32_e32 v42, vcc_lo, 0, v238, vcc_lo
	s_waitcnt vmcnt(1)
	scratch_store_b128 off, v[37:40], off offset:188 ; 16-byte Folded Spill
	s_waitcnt vmcnt(0)
	v_mul_f64 v[33:34], v[31:32], v[39:40]
	v_mul_f64 v[35:36], v[29:30], v[39:40]
	s_delay_alu instid0(VALU_DEP_2) | instskip(NEXT) | instid1(VALU_DEP_2)
	v_fma_f64 v[29:30], v[29:30], v[37:38], v[33:34]
	v_fma_f64 v[31:32], v[31:32], v[37:38], -v[35:36]
	global_load_b128 v[33:36], v[22:23], off
	s_clause 0x1
	global_load_b128 v[43:46], v[41:42], off offset:544
	global_load_b128 v[51:54], v[41:42], off offset:1792
	v_add_co_u32 v22, vcc_lo, v22, s2
	v_add_co_ci_u32_e32 v23, vcc_lo, s3, v23, vcc_lo
	s_waitcnt vmcnt(1)
	v_mul_f64 v[37:38], v[35:36], v[45:46]
	v_mul_f64 v[39:40], v[33:34], v[45:46]
	scratch_store_b128 off, v[43:46], off offset:204 ; 16-byte Folded Spill
	s_waitcnt vmcnt(0)
	scratch_store_b128 off, v[51:54], off offset:220 ; 16-byte Folded Spill
	v_fma_f64 v[33:34], v[33:34], v[43:44], v[37:38]
	v_fma_f64 v[35:36], v[35:36], v[43:44], -v[39:40]
	global_load_b128 v[37:40], v[22:23], off
	v_add_co_u32 v22, vcc_lo, v22, s2
	v_add_co_ci_u32_e32 v23, vcc_lo, s3, v23, vcc_lo
	s_waitcnt vmcnt(0)
	v_mul_f64 v[43:44], v[39:40], v[53:54]
	v_mul_f64 v[45:46], v[37:38], v[53:54]
	s_delay_alu instid0(VALU_DEP_2) | instskip(NEXT) | instid1(VALU_DEP_2)
	v_fma_f64 v[37:38], v[37:38], v[51:52], v[43:44]
	v_fma_f64 v[39:40], v[39:40], v[51:52], -v[45:46]
	global_load_b128 v[51:54], v[41:42], off offset:3040
	global_load_b128 v[41:44], v[22:23], off
	v_add_co_u32 v22, vcc_lo, v22, s2
	v_add_co_ci_u32_e32 v23, vcc_lo, s3, v23, vcc_lo
	v_add_co_u32 v184, vcc_lo, 0x3000, v50
	v_add_co_ci_u32_e32 v185, vcc_lo, 0, v238, vcc_lo
	s_waitcnt vmcnt(1)
	scratch_store_b128 off, v[51:54], off offset:236 ; 16-byte Folded Spill
	s_waitcnt vmcnt(0)
	v_mul_f64 v[45:46], v[43:44], v[53:54]
	v_mul_f64 v[47:48], v[41:42], v[53:54]
	s_delay_alu instid0(VALU_DEP_2) | instskip(NEXT) | instid1(VALU_DEP_2)
	v_fma_f64 v[41:42], v[41:42], v[51:52], v[45:46]
	v_fma_f64 v[43:44], v[43:44], v[51:52], -v[47:48]
	global_load_b128 v[45:48], v[22:23], off
	s_clause 0x1
	global_load_b128 v[55:58], v[184:185], off offset:192
	global_load_b128 v[59:62], v[184:185], off offset:1440
	v_add_co_u32 v22, vcc_lo, v22, s2
	v_add_co_ci_u32_e32 v23, vcc_lo, s3, v23, vcc_lo
	s_waitcnt vmcnt(1)
	v_mul_f64 v[51:52], v[47:48], v[57:58]
	v_mul_f64 v[53:54], v[45:46], v[57:58]
	scratch_store_b128 off, v[55:58], off offset:252 ; 16-byte Folded Spill
	s_waitcnt vmcnt(0)
	scratch_store_b128 off, v[59:62], off offset:268 ; 16-byte Folded Spill
	v_fma_f64 v[45:46], v[45:46], v[55:56], v[51:52]
	v_fma_f64 v[47:48], v[47:48], v[55:56], -v[53:54]
	global_load_b128 v[51:54], v[22:23], off
	v_add_co_u32 v22, vcc_lo, v22, s2
	v_add_co_ci_u32_e32 v23, vcc_lo, s3, v23, vcc_lo
	v_cmp_eq_u32_e32 vcc_lo, 1, v1
	s_mov_b32 s2, 0x93053d00
	s_mov_b32 s3, 0xbfef11f4
	v_cndmask_b32_e64 v49, 0, 0x3f60, vcc_lo
	v_cmp_gt_u16_e32 vcc_lo, 13, v24
	s_waitcnt vmcnt(0)
	v_mul_f64 v[55:56], v[53:54], v[61:62]
	v_mul_f64 v[57:58], v[51:52], v[61:62]
	s_delay_alu instid0(VALU_DEP_2) | instskip(NEXT) | instid1(VALU_DEP_2)
	v_fma_f64 v[55:56], v[51:52], v[59:60], v[55:56]
	v_fma_f64 v[57:58], v[53:54], v[59:60], -v[57:58]
	global_load_b128 v[51:54], v[22:23], off
	global_load_b128 v[63:66], v[184:185], off offset:2688
	s_waitcnt vmcnt(0)
	v_mul_f64 v[22:23], v[53:54], v[65:66]
	v_mul_f64 v[61:62], v[51:52], v[65:66]
	scratch_store_b128 off, v[63:66], off offset:288 ; 16-byte Folded Spill
	v_fma_f64 v[59:60], v[51:52], v[63:64], v[22:23]
	v_fma_f64 v[61:62], v[53:54], v[63:64], -v[61:62]
	v_add_nc_u32_e32 v51, v49, v0
	ds_store_b128 v51, v[2:5]
	ds_store_b128 v51, v[6:9] offset:1248
	ds_store_b128 v51, v[10:13] offset:2496
	;; [unrolled: 1-line block ×12, first 2 shown]
	s_load_b128 s[4:7], s[6:7], 0x0
	s_waitcnt lgkmcnt(0)
	s_waitcnt_vscnt null, 0x0
	s_barrier
	buffer_gl0_inv
	ds_load_b128 v[52:55], v51
	ds_load_b128 v[56:59], v51 offset:1248
	ds_load_b128 v[60:63], v51 offset:2496
	;; [unrolled: 1-line block ×7, first 2 shown]
	s_waitcnt lgkmcnt(6)
	v_add_f64 v[0:1], v[52:53], v[56:57]
	v_add_f64 v[2:3], v[54:55], v[58:59]
	s_waitcnt lgkmcnt(5)
	s_delay_alu instid0(VALU_DEP_2) | instskip(NEXT) | instid1(VALU_DEP_2)
	v_add_f64 v[0:1], v[0:1], v[60:61]
	v_add_f64 v[2:3], v[2:3], v[62:63]
	s_waitcnt lgkmcnt(4)
	s_delay_alu instid0(VALU_DEP_2) | instskip(NEXT) | instid1(VALU_DEP_2)
	;; [unrolled: 4-line block ×5, first 2 shown]
	v_add_f64 v[12:13], v[0:1], v[4:5]
	v_add_f64 v[14:15], v[2:3], v[6:7]
	s_waitcnt lgkmcnt(0)
	v_add_f64 v[0:1], v[4:5], v[8:9]
	v_add_f64 v[2:3], v[6:7], v[10:11]
	v_add_f64 v[4:5], v[4:5], -v[8:9]
	v_add_f64 v[6:7], v[6:7], -v[10:11]
	v_add_f64 v[20:21], v[12:13], v[8:9]
	v_add_f64 v[22:23], v[14:15], v[10:11]
	ds_load_b128 v[12:15], v51 offset:9984
	ds_load_b128 v[25:28], v51 offset:11232
	v_mul_f64 v[140:141], v[4:5], s[20:21]
	v_mul_f64 v[138:139], v[6:7], s[20:21]
	;; [unrolled: 1-line block ×4, first 2 shown]
	s_waitcnt lgkmcnt(1)
	v_add_f64 v[8:9], v[72:73], v[12:13]
	v_add_f64 v[10:11], v[74:75], v[14:15]
	v_add_f64 v[16:17], v[72:73], -v[12:13]
	v_add_f64 v[18:19], v[74:75], -v[14:15]
	v_add_f64 v[29:30], v[20:21], v[12:13]
	v_add_f64 v[31:32], v[22:23], v[14:15]
	s_waitcnt lgkmcnt(0)
	v_add_f64 v[12:13], v[68:69], v[25:26]
	v_add_f64 v[14:15], v[70:71], v[27:28]
	v_add_f64 v[20:21], v[68:69], -v[25:26]
	v_add_f64 v[22:23], v[70:71], -v[27:28]
	v_mul_f64 v[116:117], v[16:17], s[34:35]
	v_mul_f64 v[114:115], v[18:19], s[34:35]
	;; [unrolled: 1-line block ×4, first 2 shown]
	v_add_f64 v[33:34], v[29:30], v[25:26]
	v_add_f64 v[35:36], v[31:32], v[27:28]
	ds_load_b128 v[25:28], v51 offset:12480
	ds_load_b128 v[29:32], v51 offset:13728
	scratch_store_b32 off, v49, off         ; 4-byte Folded Spill
	v_mul_f64 v[112:113], v[20:21], s[36:37]
	v_mul_f64 v[110:111], v[22:23], s[36:37]
	;; [unrolled: 1-line block ×4, first 2 shown]
	s_waitcnt lgkmcnt(1)
	v_add_f64 v[72:73], v[64:65], v[25:26]
	v_add_f64 v[74:75], v[66:67], v[27:28]
	v_add_f64 v[76:77], v[64:65], -v[25:26]
	v_add_f64 v[78:79], v[66:67], -v[27:28]
	s_waitcnt lgkmcnt(0)
	v_add_f64 v[80:81], v[60:61], -v[29:30]
	v_add_f64 v[82:83], v[62:63], -v[31:32]
	v_add_f64 v[84:85], v[60:61], v[29:30]
	v_add_f64 v[86:87], v[62:63], v[31:32]
	v_add_f64 v[25:26], v[33:34], v[25:26]
	v_add_f64 v[27:28], v[35:36], v[27:28]
	v_mul_f64 v[128:129], v[76:77], s[38:39]
	v_mul_f64 v[126:127], v[78:79], s[38:39]
	;; [unrolled: 1-line block ×6, first 2 shown]
	s_mov_b32 s37, 0x3fcea1e5
	s_mov_b32 s36, s14
	;; [unrolled: 1-line block ×3, first 2 shown]
	v_mul_f64 v[154:155], v[18:19], s[36:37]
	v_mul_f64 v[156:157], v[16:17], s[36:37]
	s_mov_b32 s38, s26
	v_mul_f64 v[162:163], v[80:81], s[34:35]
	v_mul_f64 v[158:159], v[6:7], s[38:39]
	;; [unrolled: 1-line block ×3, first 2 shown]
	v_add_f64 v[29:30], v[25:26], v[29:30]
	v_add_f64 v[31:32], v[27:28], v[31:32]
	ds_load_b128 v[25:28], v51 offset:14976
	v_mul_f64 v[164:165], v[76:77], s[26:27]
	v_mul_f64 v[166:167], v[22:23], s[36:37]
	;; [unrolled: 1-line block ×3, first 2 shown]
	s_waitcnt lgkmcnt(0)
	s_waitcnt_vscnt null, 0x0
	s_barrier
	buffer_gl0_inv
	v_add_f64 v[33:34], v[58:59], -v[27:28]
	v_add_f64 v[35:36], v[56:57], -v[25:26]
	v_add_f64 v[37:38], v[56:57], v[25:26]
	v_add_f64 v[39:40], v[58:59], v[27:28]
	;; [unrolled: 1-line block ×4, first 2 shown]
	v_mul_f64 v[29:30], v[33:34], s[30:31]
	v_mul_f64 v[31:32], v[33:34], s[26:27]
	;; [unrolled: 1-line block ×10, first 2 shown]
	v_fma_f64 v[47:48], v[37:38], s[28:29], -v[29:30]
	v_fma_f64 v[29:30], v[37:38], s[28:29], v[29:30]
	v_fma_f64 v[56:57], v[37:38], s[18:19], -v[31:32]
	v_fma_f64 v[31:32], v[37:38], s[18:19], v[31:32]
	v_fma_f64 v[58:59], v[37:38], s[16:17], -v[41:42]
	v_fma_f64 v[41:42], v[37:38], s[16:17], v[41:42]
	v_fma_f64 v[60:61], v[37:38], s[12:13], -v[43:44]
	v_fma_f64 v[43:44], v[37:38], s[12:13], v[43:44]
	v_fma_f64 v[62:63], v[37:38], s[8:9], -v[45:46]
	v_fma_f64 v[45:46], v[37:38], s[8:9], v[45:46]
	v_fma_f64 v[64:65], v[37:38], s[2:3], -v[33:34]
	v_fma_f64 v[33:34], v[37:38], s[2:3], v[33:34]
	v_mul_f64 v[37:38], v[35:36], s[30:31]
	v_fma_f64 v[94:95], v[39:40], s[16:17], v[68:69]
	v_mul_f64 v[35:36], v[35:36], s[14:15]
	v_fma_f64 v[92:93], v[39:40], s[18:19], v[66:67]
	v_fma_f64 v[96:97], v[39:40], s[12:13], v[70:71]
	;; [unrolled: 1-line block ×3, first 2 shown]
	v_fma_f64 v[66:67], v[39:40], s[18:19], -v[66:67]
	v_fma_f64 v[68:69], v[39:40], s[16:17], -v[68:69]
	;; [unrolled: 1-line block ×4, first 2 shown]
	s_mov_b32 s31, 0x3fddbe06
	s_delay_alu instid0(SALU_CYCLE_1)
	v_mul_f64 v[118:119], v[6:7], s[30:31]
	v_mul_f64 v[120:121], v[4:5], s[30:31]
	;; [unrolled: 1-line block ×10, first 2 shown]
	v_add_f64 v[102:103], v[52:53], v[47:48]
	v_add_f64 v[104:105], v[52:53], v[29:30]
	;; [unrolled: 1-line block ×3, first 2 shown]
	v_fma_f64 v[90:91], v[39:40], s[28:29], v[37:38]
	v_fma_f64 v[37:38], v[39:40], s[28:29], -v[37:38]
	v_add_f64 v[47:48], v[54:55], v[94:95]
	v_mul_f64 v[94:95], v[82:83], s[22:23]
	v_fma_f64 v[100:101], v[39:40], s[2:3], v[35:36]
	v_fma_f64 v[35:36], v[39:40], s[2:3], -v[35:36]
	v_add_f64 v[39:40], v[52:53], v[58:59]
	v_add_f64 v[56:57], v[54:55], v[96:97]
	;; [unrolled: 1-line block ×3, first 2 shown]
	v_mul_f64 v[96:97], v[80:81], s[22:23]
	v_mul_f64 v[98:99], v[78:79], s[14:15]
	v_add_f64 v[108:109], v[54:55], v[66:67]
	v_add_f64 v[66:67], v[52:53], v[41:42]
	;; [unrolled: 1-line block ×10, first 2 shown]
	v_mul_f64 v[80:81], v[80:81], s[26:27]
	v_add_f64 v[90:91], v[54:55], v[90:91]
	v_add_f64 v[106:107], v[54:55], v[37:38]
	;; [unrolled: 1-line block ×4, first 2 shown]
	v_fma_f64 v[31:32], v[84:85], s[12:13], -v[94:95]
	v_add_f64 v[64:65], v[54:55], v[100:101]
	v_add_f64 v[52:53], v[52:53], v[33:34]
	v_mul_f64 v[100:101], v[76:77], s[14:15]
	v_add_f64 v[54:55], v[54:55], v[35:36]
	v_fma_f64 v[35:36], v[86:87], s[2:3], v[124:125]
	v_fma_f64 v[33:34], v[72:73], s[2:3], -v[98:99]
	v_add_f64 v[29:30], v[31:32], v[29:30]
	v_fma_f64 v[31:32], v[86:87], s[12:13], v[96:97]
	s_delay_alu instid0(VALU_DEP_4) | instskip(NEXT) | instid1(VALU_DEP_3)
	v_add_f64 v[35:36], v[35:36], v[47:48]
	v_add_f64 v[29:30], v[33:34], v[29:30]
	s_delay_alu instid0(VALU_DEP_3) | instskip(SKIP_2) | instid1(VALU_DEP_2)
	v_add_f64 v[31:32], v[31:32], v[37:38]
	v_fma_f64 v[33:34], v[74:75], s[2:3], v[100:101]
	v_fma_f64 v[37:38], v[72:73], s[12:13], -v[126:127]
	v_add_f64 v[31:32], v[33:34], v[31:32]
	v_fma_f64 v[33:34], v[12:13], s[8:9], -v[110:111]
	s_delay_alu instid0(VALU_DEP_1) | instskip(SKIP_1) | instid1(VALU_DEP_1)
	v_add_f64 v[29:30], v[33:34], v[29:30]
	v_fma_f64 v[33:34], v[14:15], s[8:9], v[112:113]
	v_add_f64 v[31:32], v[33:34], v[31:32]
	v_fma_f64 v[33:34], v[8:9], s[16:17], -v[114:115]
	s_delay_alu instid0(VALU_DEP_1) | instskip(SKIP_1) | instid1(VALU_DEP_1)
	v_add_f64 v[29:30], v[33:34], v[29:30]
	v_fma_f64 v[33:34], v[10:11], s[16:17], v[116:117]
	;; [unrolled: 5-line block ×3, first 2 shown]
	v_add_f64 v[31:32], v[33:34], v[31:32]
	v_fma_f64 v[33:34], v[84:85], s[2:3], -v[122:123]
	s_delay_alu instid0(VALU_DEP_1) | instskip(SKIP_1) | instid1(VALU_DEP_2)
	v_add_f64 v[33:34], v[33:34], v[39:40]
	v_fma_f64 v[39:40], v[86:87], s[8:9], v[144:145]
	v_add_f64 v[33:34], v[37:38], v[33:34]
	v_fma_f64 v[37:38], v[74:75], s[12:13], v[128:129]
	s_delay_alu instid0(VALU_DEP_3) | instskip(SKIP_2) | instid1(VALU_DEP_4)
	v_add_f64 v[39:40], v[39:40], v[56:57]
	v_mul_f64 v[56:57], v[82:83], s[34:35]
	v_mul_f64 v[82:83], v[82:83], s[26:27]
	v_add_f64 v[35:36], v[37:38], v[35:36]
	v_fma_f64 v[37:38], v[12:13], s[28:29], -v[130:131]
	s_delay_alu instid0(VALU_DEP_1) | instskip(SKIP_1) | instid1(VALU_DEP_1)
	v_add_f64 v[33:34], v[37:38], v[33:34]
	v_fma_f64 v[37:38], v[14:15], s[28:29], v[132:133]
	v_add_f64 v[35:36], v[37:38], v[35:36]
	v_fma_f64 v[37:38], v[8:9], s[18:19], -v[134:135]
	s_delay_alu instid0(VALU_DEP_1) | instskip(SKIP_1) | instid1(VALU_DEP_1)
	v_add_f64 v[33:34], v[37:38], v[33:34]
	v_fma_f64 v[37:38], v[10:11], s[18:19], v[136:137]
	;; [unrolled: 5-line block ×3, first 2 shown]
	v_add_f64 v[35:36], v[37:38], v[35:36]
	v_fma_f64 v[37:38], v[84:85], s[8:9], -v[142:143]
	s_delay_alu instid0(VALU_DEP_1) | instskip(SKIP_1) | instid1(VALU_DEP_1)
	v_add_f64 v[37:38], v[37:38], v[41:42]
	v_fma_f64 v[41:42], v[72:73], s[28:29], -v[146:147]
	v_add_f64 v[37:38], v[41:42], v[37:38]
	v_fma_f64 v[41:42], v[74:75], s[28:29], v[148:149]
	s_delay_alu instid0(VALU_DEP_1) | instskip(SKIP_1) | instid1(VALU_DEP_1)
	v_add_f64 v[39:40], v[41:42], v[39:40]
	v_fma_f64 v[41:42], v[12:13], s[16:17], -v[150:151]
	v_add_f64 v[37:38], v[41:42], v[37:38]
	v_fma_f64 v[41:42], v[14:15], s[16:17], v[152:153]
	;; [unrolled: 5-line block ×4, first 2 shown]
	s_delay_alu instid0(VALU_DEP_1) | instskip(SKIP_2) | instid1(VALU_DEP_2)
	v_add_f64 v[39:40], v[41:42], v[39:40]
	v_fma_f64 v[41:42], v[84:85], s[16:17], -v[56:57]
	v_fma_f64 v[56:57], v[84:85], s[16:17], v[56:57]
	v_add_f64 v[41:42], v[41:42], v[43:44]
	v_fma_f64 v[43:44], v[86:87], s[16:17], v[162:163]
	s_delay_alu instid0(VALU_DEP_3) | instskip(SKIP_1) | instid1(VALU_DEP_3)
	v_add_f64 v[56:57], v[56:57], v[62:63]
	v_fma_f64 v[62:63], v[86:87], s[16:17], -v[162:163]
	v_add_f64 v[43:44], v[43:44], v[58:59]
	v_mul_f64 v[58:59], v[78:79], s[26:27]
	s_delay_alu instid0(VALU_DEP_3) | instskip(SKIP_1) | instid1(VALU_DEP_3)
	v_add_f64 v[62:63], v[62:63], v[88:89]
	v_fma_f64 v[88:89], v[72:73], s[2:3], v[98:99]
	v_fma_f64 v[47:48], v[72:73], s[18:19], -v[58:59]
	v_fma_f64 v[58:59], v[72:73], s[18:19], v[58:59]
	s_delay_alu instid0(VALU_DEP_2) | instskip(SKIP_1) | instid1(VALU_DEP_3)
	v_add_f64 v[41:42], v[47:48], v[41:42]
	v_fma_f64 v[47:48], v[74:75], s[18:19], v[164:165]
	v_add_f64 v[56:57], v[58:59], v[56:57]
	v_fma_f64 v[58:59], v[74:75], s[18:19], -v[164:165]
	s_delay_alu instid0(VALU_DEP_3) | instskip(SKIP_1) | instid1(VALU_DEP_3)
	v_add_f64 v[43:44], v[47:48], v[43:44]
	v_fma_f64 v[47:48], v[12:13], s[2:3], -v[166:167]
	v_add_f64 v[58:59], v[58:59], v[62:63]
	v_fma_f64 v[62:63], v[12:13], s[2:3], v[166:167]
	s_delay_alu instid0(VALU_DEP_3) | instskip(SKIP_1) | instid1(VALU_DEP_3)
	v_add_f64 v[41:42], v[47:48], v[41:42]
	v_fma_f64 v[47:48], v[14:15], s[2:3], v[168:169]
	v_add_f64 v[56:57], v[62:63], v[56:57]
	v_fma_f64 v[62:63], v[14:15], s[2:3], -v[168:169]
	s_delay_alu instid0(VALU_DEP_3) | instskip(SKIP_1) | instid1(VALU_DEP_3)
	v_add_f64 v[43:44], v[47:48], v[43:44]
	v_fma_f64 v[47:48], v[8:9], s[28:29], -v[170:171]
	v_add_f64 v[58:59], v[62:63], v[58:59]
	v_fma_f64 v[62:63], v[8:9], s[28:29], v[170:171]
	s_delay_alu instid0(VALU_DEP_3) | instskip(SKIP_1) | instid1(VALU_DEP_3)
	;; [unrolled: 10-line block ×3, first 2 shown]
	v_add_f64 v[41:42], v[47:48], v[41:42]
	v_fma_f64 v[47:48], v[2:3], s[12:13], v[176:177]
	v_add_f64 v[56:57], v[62:63], v[56:57]
	v_fma_f64 v[62:63], v[84:85], s[8:9], v[142:143]
	s_delay_alu instid0(VALU_DEP_3) | instskip(SKIP_2) | instid1(VALU_DEP_4)
	v_add_f64 v[43:44], v[47:48], v[43:44]
	v_fma_f64 v[47:48], v[84:85], s[28:29], -v[178:179]
	v_fma_f64 v[178:179], v[84:85], s[28:29], v[178:179]
	v_add_f64 v[60:61], v[62:63], v[60:61]
	v_fma_f64 v[62:63], v[86:87], s[8:9], -v[144:145]
                                        ; implicit-def: $vgpr144_vgpr145
	s_delay_alu instid0(VALU_DEP_4)
	v_add_f64 v[45:46], v[47:48], v[45:46]
	v_fma_f64 v[47:48], v[86:87], s[28:29], v[180:181]
	v_add_f64 v[52:53], v[178:179], v[52:53]
	v_fma_f64 v[178:179], v[86:87], s[28:29], -v[180:181]
	v_add_f64 v[62:63], v[62:63], v[70:71]
	v_fma_f64 v[70:71], v[2:3], s[18:19], -v[160:161]
                                        ; implicit-def: $vgpr180_vgpr181
	v_add_f64 v[47:48], v[47:48], v[64:65]
	v_mul_f64 v[64:65], v[78:79], s[20:21]
	v_add_f64 v[54:55], v[178:179], v[54:55]
	v_mul_f64 v[78:79], v[78:79], s[24:25]
	s_delay_alu instid0(VALU_DEP_3) | instskip(SKIP_1) | instid1(VALU_DEP_2)
	v_fma_f64 v[182:183], v[72:73], s[8:9], -v[64:65]
	v_fma_f64 v[64:65], v[72:73], s[8:9], v[64:65]
	v_add_f64 v[45:46], v[182:183], v[45:46]
	v_mul_f64 v[182:183], v[76:77], s[20:21]
	s_delay_alu instid0(VALU_DEP_3) | instskip(SKIP_1) | instid1(VALU_DEP_3)
	v_add_f64 v[52:53], v[64:65], v[52:53]
	v_mul_f64 v[76:77], v[76:77], s[24:25]
	v_fma_f64 v[186:187], v[74:75], s[8:9], v[182:183]
	v_fma_f64 v[64:65], v[74:75], s[8:9], -v[182:183]
	s_delay_alu instid0(VALU_DEP_2) | instskip(SKIP_1) | instid1(VALU_DEP_3)
	v_add_f64 v[47:48], v[186:187], v[47:48]
	v_mul_f64 v[186:187], v[22:23], s[38:39]
	v_add_f64 v[54:55], v[64:65], v[54:55]
	v_mul_f64 v[22:23], v[22:23], s[22:23]
	s_delay_alu instid0(VALU_DEP_3) | instskip(SKIP_1) | instid1(VALU_DEP_2)
	v_fma_f64 v[188:189], v[12:13], s[18:19], -v[186:187]
	v_fma_f64 v[64:65], v[12:13], s[18:19], v[186:187]
	v_add_f64 v[45:46], v[188:189], v[45:46]
	v_mul_f64 v[188:189], v[20:21], s[38:39]
	s_delay_alu instid0(VALU_DEP_3) | instskip(SKIP_1) | instid1(VALU_DEP_3)
	v_add_f64 v[52:53], v[64:65], v[52:53]
	v_mul_f64 v[20:21], v[20:21], s[22:23]
	v_fma_f64 v[190:191], v[14:15], s[18:19], v[188:189]
	v_fma_f64 v[64:65], v[14:15], s[18:19], -v[188:189]
	s_delay_alu instid0(VALU_DEP_2) | instskip(SKIP_1) | instid1(VALU_DEP_3)
	;; [unrolled: 15-line block ×3, first 2 shown]
	v_add_f64 v[47:48], v[194:195], v[47:48]
	v_mul_f64 v[194:195], v[6:7], s[34:35]
	v_add_f64 v[54:55], v[64:65], v[54:55]
	s_delay_alu instid0(VALU_DEP_2) | instskip(SKIP_1) | instid1(VALU_DEP_2)
	v_fma_f64 v[64:65], v[0:1], s[16:17], v[194:195]
	v_fma_f64 v[196:197], v[0:1], s[16:17], -v[194:195]
	v_add_f64 v[52:53], v[64:65], v[52:53]
	v_fma_f64 v[64:65], v[2:3], s[12:13], -v[176:177]
	s_delay_alu instid0(VALU_DEP_3) | instskip(SKIP_1) | instid1(VALU_DEP_3)
	v_add_f64 v[45:46], v[196:197], v[45:46]
	v_mul_f64 v[196:197], v[4:5], s[34:35]
                                        ; implicit-def: $vgpr176_vgpr177
	v_add_f64 v[58:59], v[64:65], v[58:59]
	v_fma_f64 v[64:65], v[72:73], s[28:29], v[146:147]
	s_delay_alu instid0(VALU_DEP_3) | instskip(SKIP_1) | instid1(VALU_DEP_3)
	v_fma_f64 v[198:199], v[2:3], s[16:17], v[196:197]
	v_fma_f64 v[178:179], v[2:3], s[16:17], -v[196:197]
	v_add_f64 v[60:61], v[64:65], v[60:61]
	v_fma_f64 v[64:65], v[74:75], s[28:29], -v[148:149]
	s_delay_alu instid0(VALU_DEP_4) | instskip(NEXT) | instid1(VALU_DEP_4)
	v_add_f64 v[47:48], v[198:199], v[47:48]
	v_add_f64 v[54:55], v[178:179], v[54:55]
                                        ; implicit-def: $vgpr148_vgpr149
	s_delay_alu instid0(VALU_DEP_3) | instskip(SKIP_1) | instid1(VALU_DEP_1)
	v_add_f64 v[62:63], v[64:65], v[62:63]
	v_fma_f64 v[64:65], v[12:13], s[16:17], v[150:151]
	v_add_f64 v[60:61], v[64:65], v[60:61]
	v_fma_f64 v[64:65], v[14:15], s[16:17], -v[152:153]
	s_delay_alu instid0(VALU_DEP_1) | instskip(SKIP_1) | instid1(VALU_DEP_1)
	v_add_f64 v[62:63], v[64:65], v[62:63]
	v_fma_f64 v[64:65], v[8:9], s[2:3], v[154:155]
	v_add_f64 v[60:61], v[64:65], v[60:61]
	v_fma_f64 v[64:65], v[10:11], s[2:3], -v[156:157]
	s_delay_alu instid0(VALU_DEP_1) | instskip(SKIP_1) | instid1(VALU_DEP_2)
	v_add_f64 v[62:63], v[64:65], v[62:63]
	v_fma_f64 v[64:65], v[0:1], s[18:19], v[158:159]
	v_add_f64 v[62:63], v[70:71], v[62:63]
	s_delay_alu instid0(VALU_DEP_2) | instskip(SKIP_2) | instid1(VALU_DEP_2)
	v_add_f64 v[60:61], v[64:65], v[60:61]
	v_fma_f64 v[64:65], v[84:85], s[2:3], v[122:123]
	v_fma_f64 v[70:71], v[2:3], s[8:9], -v[140:141]
                                        ; implicit-def: $vgpr140_vgpr141
	v_add_f64 v[64:65], v[64:65], v[66:67]
	v_fma_f64 v[66:67], v[86:87], s[2:3], -v[124:125]
	s_delay_alu instid0(VALU_DEP_1) | instskip(SKIP_1) | instid1(VALU_DEP_1)
	v_add_f64 v[66:67], v[66:67], v[68:69]
	v_fma_f64 v[68:69], v[72:73], s[12:13], v[126:127]
	v_add_f64 v[64:65], v[68:69], v[64:65]
	v_fma_f64 v[68:69], v[74:75], s[12:13], -v[128:129]
	s_delay_alu instid0(VALU_DEP_1) | instskip(SKIP_1) | instid1(VALU_DEP_1)
	v_add_f64 v[66:67], v[68:69], v[66:67]
	v_fma_f64 v[68:69], v[12:13], s[28:29], v[130:131]
	;; [unrolled: 5-line block ×3, first 2 shown]
	v_add_f64 v[64:65], v[68:69], v[64:65]
	v_fma_f64 v[68:69], v[10:11], s[18:19], -v[136:137]
	s_delay_alu instid0(VALU_DEP_1) | instskip(SKIP_1) | instid1(VALU_DEP_2)
	v_add_f64 v[66:67], v[68:69], v[66:67]
	v_fma_f64 v[68:69], v[0:1], s[8:9], v[138:139]
	v_add_f64 v[66:67], v[70:71], v[66:67]
	s_delay_alu instid0(VALU_DEP_2) | instskip(SKIP_3) | instid1(VALU_DEP_3)
	v_add_f64 v[64:65], v[68:69], v[64:65]
	v_fma_f64 v[68:69], v[84:85], s[12:13], v[94:95]
	v_fma_f64 v[70:71], v[86:87], s[12:13], -v[96:97]
	v_mul_f64 v[94:95], v[4:5], s[14:15]
	v_add_f64 v[68:69], v[68:69], v[92:93]
	s_delay_alu instid0(VALU_DEP_3) | instskip(SKIP_1) | instid1(VALU_DEP_3)
	v_add_f64 v[70:71], v[70:71], v[108:109]
	v_fma_f64 v[92:93], v[2:3], s[28:29], -v[120:121]
	v_add_f64 v[68:69], v[88:89], v[68:69]
	v_fma_f64 v[88:89], v[74:75], s[2:3], -v[100:101]
	s_delay_alu instid0(VALU_DEP_1) | instskip(SKIP_1) | instid1(VALU_DEP_1)
	v_add_f64 v[70:71], v[88:89], v[70:71]
	v_fma_f64 v[88:89], v[12:13], s[8:9], v[110:111]
	v_add_f64 v[68:69], v[88:89], v[68:69]
	v_fma_f64 v[88:89], v[14:15], s[8:9], -v[112:113]
	s_delay_alu instid0(VALU_DEP_1) | instskip(SKIP_1) | instid1(VALU_DEP_1)
	v_add_f64 v[70:71], v[88:89], v[70:71]
	v_fma_f64 v[88:89], v[8:9], s[16:17], v[114:115]
	v_add_f64 v[68:69], v[88:89], v[68:69]
	v_fma_f64 v[88:89], v[10:11], s[16:17], -v[116:117]
	s_delay_alu instid0(VALU_DEP_1) | instskip(SKIP_1) | instid1(VALU_DEP_2)
	v_add_f64 v[70:71], v[88:89], v[70:71]
	v_fma_f64 v[88:89], v[0:1], s[28:29], v[118:119]
	v_add_f64 v[70:71], v[92:93], v[70:71]
	s_delay_alu instid0(VALU_DEP_2) | instskip(SKIP_4) | instid1(VALU_DEP_4)
	v_add_f64 v[68:69], v[88:89], v[68:69]
	v_fma_f64 v[88:89], v[84:85], s[18:19], -v[82:83]
	v_fma_f64 v[92:93], v[86:87], s[18:19], v[80:81]
	v_fma_f64 v[82:83], v[84:85], s[18:19], v[82:83]
	v_fma_f64 v[80:81], v[86:87], s[18:19], -v[80:81]
	v_add_f64 v[88:89], v[88:89], v[102:103]
	s_delay_alu instid0(VALU_DEP_4) | instskip(SKIP_3) | instid1(VALU_DEP_3)
	v_add_f64 v[90:91], v[92:93], v[90:91]
	v_fma_f64 v[92:93], v[72:73], s[16:17], -v[78:79]
	v_fma_f64 v[72:73], v[72:73], s[16:17], v[78:79]
	v_add_f64 v[78:79], v[80:81], v[106:107]
	v_add_f64 v[88:89], v[92:93], v[88:89]
	v_fma_f64 v[92:93], v[74:75], s[16:17], v[76:77]
	v_fma_f64 v[74:75], v[74:75], s[16:17], -v[76:77]
	v_add_f64 v[76:77], v[82:83], v[104:105]
	s_delay_alu instid0(VALU_DEP_3) | instskip(SKIP_3) | instid1(VALU_DEP_3)
	v_add_f64 v[90:91], v[92:93], v[90:91]
	v_fma_f64 v[92:93], v[12:13], s[12:13], -v[22:23]
	v_fma_f64 v[12:13], v[12:13], s[12:13], v[22:23]
	v_add_f64 v[22:23], v[74:75], v[78:79]
	v_add_f64 v[88:89], v[92:93], v[88:89]
	v_fma_f64 v[92:93], v[14:15], s[12:13], v[20:21]
	v_fma_f64 v[14:15], v[14:15], s[12:13], -v[20:21]
	v_add_f64 v[20:21], v[72:73], v[76:77]
	s_delay_alu instid0(VALU_DEP_3) | instskip(SKIP_2) | instid1(VALU_DEP_4)
	v_add_f64 v[90:91], v[92:93], v[90:91]
	v_fma_f64 v[92:93], v[8:9], s[8:9], -v[18:19]
	v_fma_f64 v[8:9], v[8:9], s[8:9], v[18:19]
	v_add_f64 v[12:13], v[12:13], v[20:21]
	v_add_f64 v[14:15], v[14:15], v[22:23]
	s_delay_alu instid0(VALU_DEP_4) | instskip(SKIP_3) | instid1(VALU_DEP_3)
	v_add_f64 v[88:89], v[92:93], v[88:89]
	v_fma_f64 v[92:93], v[10:11], s[8:9], v[16:17]
	v_fma_f64 v[10:11], v[10:11], s[8:9], -v[16:17]
	v_add_f64 v[8:9], v[8:9], v[12:13]
	v_add_f64 v[90:91], v[92:93], v[90:91]
	v_mul_f64 v[92:93], v[6:7], s[14:15]
	v_fma_f64 v[6:7], v[2:3], s[2:3], v[94:95]
	v_fma_f64 v[2:3], v[2:3], s[2:3], -v[94:95]
	v_add_f64 v[10:11], v[10:11], v[14:15]
	s_delay_alu instid0(VALU_DEP_4) | instskip(SKIP_2) | instid1(VALU_DEP_4)
	v_fma_f64 v[4:5], v[0:1], s[2:3], -v[92:93]
	v_fma_f64 v[0:1], v[0:1], s[2:3], v[92:93]
	v_add_f64 v[6:7], v[6:7], v[90:91]
	v_add_f64 v[74:75], v[2:3], v[10:11]
	s_load_b64 s[2:3], s[0:1], 0x38
	s_delay_alu instid0(VALU_DEP_4) | instskip(NEXT) | instid1(VALU_DEP_4)
	v_add_f64 v[4:5], v[4:5], v[88:89]
	v_add_f64 v[72:73], v[0:1], v[8:9]
	v_mul_lo_u16 v0, v24, 13
	s_delay_alu instid0(VALU_DEP_1) | instskip(NEXT) | instid1(VALU_DEP_1)
	v_and_b32_e32 v0, 0xffff, v0
	v_lshl_add_u32 v255, v0, 4, v49
	ds_store_b128 v255, v[29:32] offset:32
	ds_store_b128 v255, v[33:36] offset:48
	;; [unrolled: 1-line block ×11, first 2 shown]
	ds_store_b128 v255, v[25:28]
	ds_store_b128 v255, v[72:75] offset:192
	s_waitcnt lgkmcnt(0)
	s_barrier
	buffer_gl0_inv
	ds_load_b128 v[112:115], v51
	ds_load_b128 v[76:79], v51 offset:1248
	ds_load_b128 v[156:159], v51 offset:2704
	ds_load_b128 v[152:155], v51 offset:3952
	ds_load_b128 v[132:135], v51 offset:5408
	ds_load_b128 v[124:127], v51 offset:6656
	ds_load_b128 v[168:171], v51 offset:8112
	ds_load_b128 v[160:163], v51 offset:9360
	ds_load_b128 v[136:139], v51 offset:10816
	ds_load_b128 v[128:131], v51 offset:12064
	ds_load_b128 v[172:175], v51 offset:13520
	ds_load_b128 v[164:167], v51 offset:14768
	s_and_saveexec_b32 s0, vcc_lo
	s_cbranch_execz .LBB0_3
; %bb.2:
	ds_load_b128 v[72:75], v51 offset:2496
	ds_load_b128 v[148:151], v51 offset:5200
	;; [unrolled: 1-line block ×6, first 2 shown]
.LBB0_3:
	s_or_b32 exec_lo, exec_lo, s0
	v_and_b32_e32 v0, 0xff, v200
	v_add_nc_u16 v1, v200, 0x4e
	v_add_nc_u16 v3, v200, 0x9c
	s_mov_b32 s0, 0xe8584caa
	s_mov_b32 s1, 0x3febb67a
	v_mul_lo_u16 v0, 0x4f, v0
	v_and_b32_e32 v2, 0xff, v1
	s_mov_b32 s9, 0xbfebb67a
	s_mov_b32 s8, s0
	s_delay_alu instid0(VALU_DEP_2) | instskip(NEXT) | instid1(VALU_DEP_2)
	v_lshrrev_b16 v52, 10, v0
	v_mul_lo_u16 v0, 0x4f, v2
	v_and_b32_e32 v2, 0xff, v3
	s_delay_alu instid0(VALU_DEP_3) | instskip(NEXT) | instid1(VALU_DEP_3)
	v_mul_lo_u16 v4, v52, 13
	v_lshrrev_b16 v8, 10, v0
	s_delay_alu instid0(VALU_DEP_3) | instskip(SKIP_1) | instid1(VALU_DEP_4)
	v_mul_lo_u16 v0, 0x4f, v2
	v_and_b32_e32 v52, 0xffff, v52
	v_sub_nc_u16 v2, v200, v4
	s_delay_alu instid0(VALU_DEP_4) | instskip(NEXT) | instid1(VALU_DEP_4)
	v_mul_lo_u16 v4, v8, 13
	v_lshrrev_b16 v0, 10, v0
	s_delay_alu instid0(VALU_DEP_4) | instskip(SKIP_4) | instid1(VALU_DEP_4)
	v_mul_u32_u24_e32 v52, 0x4e, v52
	v_and_b32_e32 v8, 0xffff, v8
	v_and_b32_e32 v9, 0xff, v2
	v_sub_nc_u16 v2, v1, v4
	v_mul_lo_u16 v4, v0, 13
	v_mul_u32_u24_e32 v8, 0x4e, v8
	s_delay_alu instid0(VALU_DEP_4) | instskip(NEXT) | instid1(VALU_DEP_3)
	v_mad_u64_u32 v[0:1], null, 0x50, v9, s[10:11]
	v_sub_nc_u16 v4, v3, v4
	v_and_b32_e32 v53, 0xff, v2
	v_add_nc_u32_e32 v9, v52, v9
	s_delay_alu instid0(VALU_DEP_3)
	v_and_b32_e32 v6, 0xff, v4
	s_clause 0x1
	global_load_b128 v[116:119], v[0:1], off offset:32
	global_load_b128 v[120:123], v[0:1], off offset:64
	v_mad_u64_u32 v[2:3], null, 0x50, v53, s[10:11]
	v_mad_u64_u32 v[4:5], null, 0x50, v6, s[10:11]
	scratch_store_b32 off, v6, off offset:304 ; 4-byte Folded Spill
	v_add_nc_u32_e32 v8, v8, v53
	s_clause 0xc
	global_load_b128 v[104:107], v[2:3], off offset:32
	global_load_b128 v[108:111], v[2:3], off offset:64
	;; [unrolled: 1-line block ×4, first 2 shown]
	global_load_b128 v[88:91], v[0:1], off
	global_load_b128 v[80:83], v[2:3], off
	;; [unrolled: 1-line block ×3, first 2 shown]
	global_load_b128 v[100:103], v[0:1], off offset:16
	global_load_b128 v[96:99], v[0:1], off offset:48
	;; [unrolled: 1-line block ×6, first 2 shown]
	scratch_load_b32 v52, off, off          ; 4-byte Folded Reload
	s_waitcnt vmcnt(13) lgkmcnt(4)
	v_mul_f64 v[10:11], v[162:163], v[106:107]
	v_mul_f64 v[12:13], v[160:161], v[106:107]
	;; [unrolled: 1-line block ×4, first 2 shown]
	s_waitcnt lgkmcnt(1)
	v_mul_f64 v[4:5], v[172:173], v[122:123]
	v_mul_f64 v[6:7], v[174:175], v[122:123]
	s_waitcnt vmcnt(12) lgkmcnt(0)
	v_mul_f64 v[14:15], v[164:165], v[110:111]
	v_mul_f64 v[16:17], v[166:167], v[110:111]
	s_waitcnt vmcnt(11)
	v_mul_f64 v[18:19], v[178:179], v[40:41]
	v_mul_f64 v[20:21], v[176:177], v[40:41]
	s_waitcnt vmcnt(10)
	;; [unrolled: 3-line block ×5, first 2 shown]
	v_mul_f64 v[34:35], v[150:151], v[58:59]
	v_mul_f64 v[36:37], v[148:149], v[58:59]
	scratch_store_b128 off, v[38:41], off offset:372 ; 16-byte Folded Spill
	s_waitcnt vmcnt(6)
	v_mul_f64 v[40:41], v[132:133], v[102:103]
	s_waitcnt vmcnt(5)
	v_mul_f64 v[42:43], v[138:139], v[98:99]
	v_mul_f64 v[44:45], v[136:137], v[98:99]
	s_waitcnt vmcnt(0)
	v_lshl_add_u32 v252, v9, 4, v52
	v_lshl_add_u32 v251, v8, 4, v52
	v_fma_f64 v[10:11], v[160:161], v[104:105], -v[10:11]
	v_fma_f64 v[12:13], v[162:163], v[104:105], v[12:13]
	v_fma_f64 v[0:1], v[168:169], v[116:117], -v[0:1]
	v_fma_f64 v[2:3], v[170:171], v[116:117], v[2:3]
	v_fma_f64 v[4:5], v[174:175], v[120:121], v[4:5]
	v_fma_f64 v[6:7], v[172:173], v[120:121], -v[6:7]
	v_fma_f64 v[14:15], v[166:167], v[108:109], v[14:15]
	v_fma_f64 v[16:17], v[164:165], v[108:109], -v[16:17]
	v_fma_f64 v[18:19], v[176:177], v[38:39], -v[18:19]
	v_fma_f64 v[20:21], v[178:179], v[38:39], v[20:21]
	v_fma_f64 v[22:23], v[182:183], v[60:61], v[22:23]
	v_fma_f64 v[24:25], v[180:181], v[60:61], -v[24:25]
	v_mul_f64 v[38:39], v[134:135], v[102:103]
	v_fma_f64 v[26:27], v[156:157], v[88:89], -v[26:27]
	v_fma_f64 v[28:29], v[158:159], v[88:89], v[28:29]
	v_mul_f64 v[156:157], v[126:127], v[94:95]
	v_mul_f64 v[158:159], v[124:125], v[94:95]
	;; [unrolled: 1-line block ×4, first 2 shown]
	v_fma_f64 v[30:31], v[152:153], v[80:81], -v[30:31]
	v_fma_f64 v[32:33], v[154:155], v[80:81], v[32:33]
	v_mul_f64 v[164:165], v[142:143], v[70:71]
	v_mul_f64 v[166:167], v[140:141], v[70:71]
	;; [unrolled: 1-line block ×4, first 2 shown]
	v_fma_f64 v[34:35], v[148:149], v[56:57], -v[34:35]
	v_fma_f64 v[36:37], v[150:151], v[56:57], v[36:37]
	v_fma_f64 v[40:41], v[134:135], v[100:101], v[40:41]
	v_fma_f64 v[42:43], v[136:137], v[96:97], -v[42:43]
	v_fma_f64 v[44:45], v[138:139], v[96:97], v[44:45]
	v_add_f64 v[46:47], v[2:3], v[4:5]
	v_add_f64 v[48:49], v[0:1], v[6:7]
	v_add_f64 v[152:153], v[12:13], v[14:15]
	v_add_f64 v[154:155], v[10:11], v[16:17]
	v_add_f64 v[134:135], v[0:1], -v[6:7]
	v_add_f64 v[136:137], v[12:13], -v[14:15]
	v_add_f64 v[148:149], v[20:21], v[22:23]
	v_add_f64 v[150:151], v[18:19], v[24:25]
	v_fma_f64 v[38:39], v[132:133], v[100:101], -v[38:39]
	v_add_f64 v[132:133], v[2:3], -v[4:5]
	v_add_f64 v[138:139], v[10:11], -v[16:17]
	v_fma_f64 v[124:125], v[124:125], v[92:93], -v[156:157]
	v_fma_f64 v[126:127], v[126:127], v[92:93], v[158:159]
	v_fma_f64 v[128:129], v[128:129], v[84:85], -v[160:161]
	v_fma_f64 v[130:131], v[130:131], v[84:85], v[162:163]
	v_add_f64 v[156:157], v[20:21], -v[22:23]
	v_add_f64 v[158:159], v[18:19], -v[24:25]
	v_fma_f64 v[140:141], v[140:141], v[68:69], -v[164:165]
	v_fma_f64 v[142:143], v[142:143], v[68:69], v[166:167]
	v_fma_f64 v[144:145], v[144:145], v[64:65], -v[168:169]
	v_fma_f64 v[146:147], v[146:147], v[64:65], v[170:171]
	v_add_f64 v[0:1], v[26:27], v[0:1]
	v_add_f64 v[2:3], v[28:29], v[2:3]
	v_add_f64 v[10:11], v[30:31], v[10:11]
	v_add_f64 v[12:13], v[32:33], v[12:13]
	v_add_f64 v[162:163], v[40:41], v[44:45]
	v_add_f64 v[18:19], v[34:35], v[18:19]
	v_add_f64 v[20:21], v[36:37], v[20:21]
	v_fma_f64 v[46:47], v[46:47], -0.5, v[28:29]
	v_fma_f64 v[48:49], v[48:49], -0.5, v[26:27]
	;; [unrolled: 1-line block ×6, first 2 shown]
	v_add_f64 v[160:161], v[38:39], v[42:43]
	v_add_f64 v[36:37], v[38:39], -v[42:43]
	v_add_f64 v[26:27], v[76:77], v[124:125]
	v_add_f64 v[28:29], v[78:79], v[126:127]
	;; [unrolled: 1-line block ×4, first 2 shown]
	v_fma_f64 v[164:165], v[134:135], s[8:9], v[46:47]
	v_fma_f64 v[166:167], v[132:133], s[8:9], v[48:49]
	;; [unrolled: 1-line block ×4, first 2 shown]
	v_add_f64 v[132:133], v[124:125], v[128:129]
	v_add_f64 v[134:135], v[126:127], v[130:131]
	v_fma_f64 v[168:169], v[138:139], s[8:9], v[152:153]
	v_fma_f64 v[170:171], v[136:137], s[8:9], v[154:155]
	;; [unrolled: 1-line block ×4, first 2 shown]
	v_add_f64 v[152:153], v[140:141], v[144:145]
	v_add_f64 v[154:155], v[142:143], v[146:147]
	v_fma_f64 v[172:173], v[158:159], s[8:9], v[148:149]
	v_fma_f64 v[174:175], v[156:157], s[8:9], v[150:151]
	;; [unrolled: 1-line block ×4, first 2 shown]
	v_add_f64 v[156:157], v[112:113], v[38:39]
	v_add_f64 v[158:159], v[40:41], -v[44:45]
	v_add_f64 v[40:41], v[114:115], v[40:41]
	v_fma_f64 v[34:35], v[160:161], -0.5, v[112:113]
	v_fma_f64 v[38:39], v[162:163], -0.5, v[114:115]
	v_add_f64 v[112:113], v[126:127], -v[130:131]
	v_add_f64 v[124:125], v[124:125], -v[128:129]
	;; [unrolled: 1-line block ×3, first 2 shown]
	v_add_f64 v[26:27], v[26:27], v[128:129]
	v_add_f64 v[28:29], v[28:29], v[130:131]
	;; [unrolled: 1-line block ×4, first 2 shown]
	v_mul_f64 v[114:115], v[164:165], s[0:1]
	v_mul_f64 v[126:127], v[166:167], -0.5
	v_mul_f64 v[160:161], v[48:49], s[8:9]
	v_mul_f64 v[162:163], v[46:47], -0.5
	v_fma_f64 v[76:77], v[132:133], -0.5, v[76:77]
	v_fma_f64 v[78:79], v[134:135], -0.5, v[78:79]
	v_add_f64 v[132:133], v[142:143], -v[146:147]
	v_mul_f64 v[134:135], v[168:169], s[0:1]
	v_mul_f64 v[142:143], v[170:171], -0.5
	v_mul_f64 v[176:177], v[136:137], s[8:9]
	v_fma_f64 v[72:73], v[152:153], -0.5, v[72:73]
	v_fma_f64 v[74:75], v[154:155], -0.5, v[74:75]
	v_mul_f64 v[152:153], v[172:173], s[0:1]
	v_mul_f64 v[154:155], v[174:175], -0.5
	v_mul_f64 v[180:181], v[150:151], s[8:9]
	v_mul_f64 v[182:183], v[148:149], -0.5
	v_add_f64 v[42:43], v[156:157], v[42:43]
	v_add_f64 v[156:157], v[2:3], v[4:5]
	;; [unrolled: 1-line block ×8, first 2 shown]
	v_mul_f64 v[178:179], v[138:139], -0.5
	v_fma_f64 v[144:145], v[158:159], s[0:1], v[34:35]
	v_fma_f64 v[146:147], v[158:159], s[8:9], v[34:35]
	;; [unrolled: 1-line block ×4, first 2 shown]
	v_add_f64 v[18:19], v[26:27], v[128:129]
	v_add_f64 v[20:21], v[28:29], v[130:131]
	v_add_f64 v[22:23], v[26:27], -v[128:129]
	v_add_f64 v[24:25], v[28:29], -v[130:131]
	v_fma_f64 v[34:35], v[48:49], 0.5, v[114:115]
	v_fma_f64 v[36:37], v[46:47], s[0:1], v[126:127]
	v_fma_f64 v[46:47], v[164:165], 0.5, v[160:161]
	v_fma_f64 v[48:49], v[166:167], s[8:9], v[162:163]
	v_fma_f64 v[114:115], v[112:113], s[0:1], v[76:77]
	;; [unrolled: 1-line block ×5, first 2 shown]
	v_fma_f64 v[124:125], v[136:137], 0.5, v[134:135]
	v_fma_f64 v[126:127], v[138:139], s[0:1], v[142:143]
	v_fma_f64 v[134:135], v[168:169], 0.5, v[176:177]
	v_fma_f64 v[138:139], v[132:133], s[0:1], v[72:73]
	v_fma_f64 v[142:143], v[132:133], s[8:9], v[72:73]
	v_fma_f64 v[160:161], v[140:141], s[8:9], v[74:75]
	v_fma_f64 v[162:163], v[140:141], s[0:1], v[74:75]
	v_fma_f64 v[140:141], v[150:151], 0.5, v[152:153]
	v_fma_f64 v[148:149], v[148:149], s[0:1], v[154:155]
	v_fma_f64 v[150:151], v[172:173], 0.5, v[180:181]
	v_fma_f64 v[152:153], v[174:175], s[8:9], v[182:183]
	v_add_f64 v[10:11], v[42:43], v[44:45]
	v_add_f64 v[14:15], v[42:43], -v[44:45]
	v_add_f64 v[12:13], v[40:41], v[156:157]
	v_add_f64 v[26:27], v[0:1], -v[2:3]
	v_add_f64 v[28:29], v[4:5], -v[6:7]
	v_fma_f64 v[136:137], v[170:171], s[8:9], v[178:179]
	v_add_f64 v[16:17], v[40:41], -v[156:157]
	v_add_f64 v[30:31], v[146:147], v[36:37]
	v_add_f64 v[38:39], v[146:147], -v[36:37]
	v_add_f64 v[36:37], v[158:159], -v[46:47]
	v_add_f64 v[32:33], v[186:187], v[48:49]
	v_add_f64 v[40:41], v[186:187], -v[48:49]
	v_add_f64 v[42:43], v[114:115], v[124:125]
	;; [unrolled: 2-line block ×4, first 2 shown]
	v_add_f64 v[124:125], v[142:143], v[148:149]
	v_add_f64 v[114:115], v[160:161], v[150:151]
	scratch_store_b128 off, v[26:29], off offset:20 ; 16-byte Folded Spill
	v_add_f64 v[28:29], v[158:159], v[46:47]
	v_add_f64 v[46:47], v[76:77], v[126:127]
	v_add_f64 v[76:77], v[76:77], -v[126:127]
	v_add_f64 v[126:127], v[162:163], v[152:153]
	v_add_f64 v[26:27], v[144:145], v[34:35]
	v_add_f64 v[34:35], v[144:145], -v[34:35]
	v_add_f64 v[48:49], v[78:79], v[136:137]
	v_add_f64 v[78:79], v[78:79], -v[136:137]
	scratch_store_b128 off, v[112:115], off offset:4 ; 16-byte Folded Spill
	v_add_f64 v[112:113], v[138:139], -v[140:141]
	v_add_f64 v[114:115], v[160:161], -v[150:151]
	scratch_store_b128 off, v[124:127], off offset:36 ; 16-byte Folded Spill
	v_add_f64 v[124:125], v[142:143], -v[148:149]
	v_add_f64 v[126:127], v[162:163], -v[152:153]
	s_clause 0x1
	scratch_store_b128 off, v[112:115], off offset:52
	scratch_store_b128 off, v[124:127], off offset:68
	s_waitcnt_vscnt null, 0x0
	s_barrier
	buffer_gl0_inv
	ds_store_b128 v252, v[10:13]
	ds_store_b128 v252, v[26:29] offset:208
	ds_store_b128 v252, v[30:33] offset:416
	;; [unrolled: 1-line block ×5, first 2 shown]
	ds_store_b128 v251, v[18:21]
	ds_store_b128 v251, v[42:45] offset:208
	ds_store_b128 v251, v[46:49] offset:416
	;; [unrolled: 1-line block ×5, first 2 shown]
	s_and_saveexec_b32 s0, vcc_lo
	s_cbranch_execz .LBB0_5
; %bb.4:
	v_add_f64 v[2:3], v[0:1], v[2:3]
	s_clause 0x1
	scratch_load_b32 v0, off, off
	scratch_load_b32 v1, off, off offset:304
	v_add_f64 v[4:5], v[4:5], v[6:7]
	scratch_load_b128 v[6:9], off, off offset:36 ; 16-byte Folded Reload
	s_waitcnt vmcnt(1)
	v_lshl_add_u32 v0, v1, 4, v0
	s_waitcnt vmcnt(0)
	ds_store_b128 v0, v[6:9] offset:15392
	scratch_load_b128 v[6:9], off, off offset:20 ; 16-byte Folded Reload
	s_waitcnt vmcnt(0)
	ds_store_b128 v0, v[6:9] offset:15600
	ds_store_b128 v0, v[2:5] offset:14976
	scratch_load_b128 v[1:4], off, off offset:4 ; 16-byte Folded Reload
	s_waitcnt vmcnt(0)
	ds_store_b128 v0, v[1:4] offset:15184
	scratch_load_b128 v[1:4], off, off offset:52 ; 16-byte Folded Reload
	s_waitcnt vmcnt(0)
	;; [unrolled: 3-line block ×3, first 2 shown]
	ds_store_b128 v0, v[1:4] offset:16016
.LBB0_5:
	s_or_b32 exec_lo, exec_lo, s0
	v_mad_u64_u32 v[0:1], null, 0xc0, v200, s[10:11]
	scratch_store_b32 off, v200, off offset:284 ; 4-byte Folded Spill
	s_waitcnt lgkmcnt(0)
	s_waitcnt_vscnt null, 0x0
	s_barrier
	buffer_gl0_inv
	s_mov_b32 s10, 0x24c2f84
	s_mov_b32 s11, 0xbfe5384d
	s_clause 0x2
	global_load_b128 v[112:115], v[0:1], off offset:1040
	global_load_b128 v[72:75], v[0:1], off offset:1056
	;; [unrolled: 1-line block ×3, first 2 shown]
	ds_load_b128 v[144:147], v51 offset:1248
	ds_load_b128 v[2:5], v51
	ds_load_b128 v[6:9], v51 offset:2496
	ds_load_b128 v[10:13], v51 offset:3744
	global_load_b128 v[160:163], v[0:1], off offset:1088
	s_mov_b32 s30, 0x4267c47c
	s_mov_b32 s16, 0xd0032e0c
	;; [unrolled: 1-line block ×31, first 2 shown]
	s_waitcnt vmcnt(3) lgkmcnt(3)
	v_mul_f64 v[14:15], v[146:147], v[114:115]
	s_waitcnt vmcnt(2) lgkmcnt(1)
	v_mul_f64 v[18:19], v[8:9], v[74:75]
	v_mul_f64 v[20:21], v[6:7], v[74:75]
	;; [unrolled: 1-line block ×3, first 2 shown]
	s_delay_alu instid0(VALU_DEP_4) | instskip(NEXT) | instid1(VALU_DEP_4)
	v_fma_f64 v[14:15], v[144:145], v[112:113], -v[14:15]
	v_fma_f64 v[186:187], v[6:7], v[72:73], -v[18:19]
	s_waitcnt vmcnt(1) lgkmcnt(0)
	v_mul_f64 v[6:7], v[12:13], v[78:79]
	s_delay_alu instid0(VALU_DEP_4) | instskip(SKIP_1) | instid1(VALU_DEP_3)
	v_fma_f64 v[16:17], v[146:147], v[112:113], v[16:17]
	v_fma_f64 v[188:189], v[8:9], v[72:73], v[20:21]
	v_fma_f64 v[190:191], v[10:11], v[76:77], -v[6:7]
	v_mul_f64 v[6:7], v[10:11], v[78:79]
	s_delay_alu instid0(VALU_DEP_1)
	v_fma_f64 v[192:193], v[12:13], v[76:77], v[6:7]
	ds_load_b128 v[6:9], v51 offset:4992
	ds_load_b128 v[10:13], v51 offset:6240
	s_clause 0x1
	global_load_b128 v[148:151], v[0:1], off offset:1104
	global_load_b128 v[144:147], v[0:1], off offset:1120
	s_waitcnt vmcnt(2) lgkmcnt(1)
	v_mul_f64 v[18:19], v[8:9], v[162:163]
	s_delay_alu instid0(VALU_DEP_1) | instskip(SKIP_1) | instid1(VALU_DEP_1)
	v_fma_f64 v[194:195], v[6:7], v[160:161], -v[18:19]
	v_mul_f64 v[6:7], v[6:7], v[162:163]
	v_fma_f64 v[196:197], v[8:9], v[160:161], v[6:7]
	s_waitcnt vmcnt(1) lgkmcnt(0)
	v_mul_f64 v[6:7], v[12:13], v[150:151]
	s_delay_alu instid0(VALU_DEP_1) | instskip(SKIP_1) | instid1(VALU_DEP_1)
	v_fma_f64 v[198:199], v[10:11], v[148:149], -v[6:7]
	v_mul_f64 v[6:7], v[10:11], v[150:151]
	v_fma_f64 v[200:201], v[12:13], v[148:149], v[6:7]
	ds_load_b128 v[6:9], v51 offset:7488
	ds_load_b128 v[10:13], v51 offset:8736
	s_clause 0x1
	global_load_b128 v[156:159], v[0:1], off offset:1136
	global_load_b128 v[152:155], v[0:1], off offset:1152
	s_waitcnt vmcnt(2) lgkmcnt(1)
	v_mul_f64 v[18:19], v[8:9], v[146:147]
	s_delay_alu instid0(VALU_DEP_1) | instskip(SKIP_1) | instid1(VALU_DEP_1)
	v_fma_f64 v[202:203], v[6:7], v[144:145], -v[18:19]
	v_mul_f64 v[6:7], v[6:7], v[146:147]
	v_fma_f64 v[204:205], v[8:9], v[144:145], v[6:7]
	s_waitcnt vmcnt(1) lgkmcnt(0)
	v_mul_f64 v[6:7], v[12:13], v[158:159]
	s_delay_alu instid0(VALU_DEP_1) | instskip(SKIP_1) | instid1(VALU_DEP_2)
	v_fma_f64 v[206:207], v[10:11], v[156:157], -v[6:7]
	v_mul_f64 v[6:7], v[10:11], v[158:159]
	v_add_f64 v[136:137], v[202:203], -v[206:207]
	s_delay_alu instid0(VALU_DEP_2)
	v_fma_f64 v[208:209], v[12:13], v[156:157], v[6:7]
	ds_load_b128 v[6:9], v51 offset:9984
	ds_load_b128 v[10:13], v51 offset:11232
	s_clause 0x1
	global_load_b128 v[164:167], v[0:1], off offset:1168
	global_load_b128 v[168:171], v[0:1], off offset:1184
	v_add_f64 v[132:133], v[202:203], v[206:207]
	s_waitcnt vmcnt(2) lgkmcnt(1)
	v_mul_f64 v[18:19], v[8:9], v[154:155]
	v_mul_f64 v[140:141], v[136:137], s[8:9]
	v_add_f64 v[138:139], v[204:205], v[208:209]
	s_delay_alu instid0(VALU_DEP_3) | instskip(SKIP_1) | instid1(VALU_DEP_3)
	v_fma_f64 v[210:211], v[6:7], v[152:153], -v[18:19]
	v_mul_f64 v[6:7], v[6:7], v[154:155]
	v_fma_f64 v[142:143], v[138:139], s[12:13], v[140:141]
	s_delay_alu instid0(VALU_DEP_2) | instskip(SKIP_2) | instid1(VALU_DEP_1)
	v_fma_f64 v[212:213], v[8:9], v[152:153], v[6:7]
	s_waitcnt vmcnt(1) lgkmcnt(0)
	v_mul_f64 v[6:7], v[12:13], v[166:167]
	v_fma_f64 v[214:215], v[10:11], v[164:165], -v[6:7]
	v_mul_f64 v[6:7], v[10:11], v[166:167]
	s_delay_alu instid0(VALU_DEP_1)
	v_fma_f64 v[216:217], v[12:13], v[164:165], v[6:7]
	ds_load_b128 v[6:9], v51 offset:12480
	ds_load_b128 v[10:13], v51 offset:13728
	s_clause 0x1
	global_load_b128 v[172:175], v[0:1], off offset:1200
	global_load_b128 v[176:179], v[0:1], off offset:1216
	s_waitcnt vmcnt(2) lgkmcnt(1)
	v_mul_f64 v[18:19], v[8:9], v[170:171]
	s_delay_alu instid0(VALU_DEP_1) | instskip(SKIP_1) | instid1(VALU_DEP_1)
	v_fma_f64 v[218:219], v[6:7], v[168:169], -v[18:19]
	v_mul_f64 v[6:7], v[6:7], v[170:171]
	v_fma_f64 v[220:221], v[8:9], v[168:169], v[6:7]
	ds_load_b128 v[6:9], v51 offset:14976
	s_waitcnt vmcnt(1) lgkmcnt(1)
	v_mul_f64 v[0:1], v[12:13], v[174:175]
	s_delay_alu instid0(VALU_DEP_1) | instskip(SKIP_1) | instid1(VALU_DEP_2)
	v_fma_f64 v[222:223], v[10:11], v[172:173], -v[0:1]
	v_mul_f64 v[0:1], v[10:11], v[174:175]
	v_add_f64 v[239:240], v[186:187], v[222:223]
	s_delay_alu instid0(VALU_DEP_2) | instskip(SKIP_3) | instid1(VALU_DEP_3)
	v_fma_f64 v[224:225], v[12:13], v[172:173], v[0:1]
	s_waitcnt vmcnt(0) lgkmcnt(0)
	v_mul_f64 v[0:1], v[6:7], v[178:179]
	v_add_f64 v[249:250], v[186:187], -v[222:223]
	v_add_f64 v[247:248], v[188:189], -v[224:225]
	s_delay_alu instid0(VALU_DEP_3) | instskip(SKIP_2) | instid1(VALU_DEP_4)
	v_fma_f64 v[226:227], v[8:9], v[176:177], v[0:1]
	v_mul_f64 v[0:1], v[8:9], v[178:179]
	v_add_f64 v[241:242], v[188:189], v[224:225]
	v_mul_f64 v[245:246], v[247:248], s[18:19]
	s_delay_alu instid0(VALU_DEP_4) | instskip(NEXT) | instid1(VALU_DEP_4)
	v_add_f64 v[44:45], v[16:17], v[226:227]
	v_fma_f64 v[228:229], v[6:7], v[176:177], -v[0:1]
	v_add_f64 v[0:1], v[16:17], -v[226:227]
	s_delay_alu instid0(VALU_DEP_2) | instskip(NEXT) | instid1(VALU_DEP_2)
	v_add_f64 v[20:21], v[14:15], v[228:229]
	v_mul_f64 v[18:19], v[0:1], s[10:11]
	v_mul_f64 v[6:7], v[0:1], s[30:31]
	;; [unrolled: 1-line block ×6, first 2 shown]
	v_fma_f64 v[32:33], v[20:21], s[16:17], -v[18:19]
	v_fma_f64 v[34:35], v[20:21], s[16:17], v[18:19]
	v_add_f64 v[18:19], v[14:15], -v[228:229]
	v_fma_f64 v[22:23], v[20:21], s[28:29], -v[6:7]
	v_fma_f64 v[6:7], v[20:21], s[28:29], v[6:7]
	v_fma_f64 v[24:25], v[20:21], s[24:25], -v[8:9]
	v_fma_f64 v[8:9], v[20:21], s[24:25], v[8:9]
	;; [unrolled: 2-line block ×5, first 2 shown]
	v_add_f64 v[14:15], v[2:3], v[14:15]
	v_add_f64 v[54:55], v[2:3], v[32:33]
	v_mul_f64 v[32:33], v[249:250], s[18:19]
	v_mul_f64 v[42:43], v[18:19], s[10:11]
	;; [unrolled: 1-line block ×3, first 2 shown]
	v_add_f64 v[243:244], v[2:3], v[6:7]
	v_add_f64 v[6:7], v[2:3], v[34:35]
	v_mul_f64 v[28:29], v[18:19], s[18:19]
	v_mul_f64 v[38:39], v[18:19], s[20:21]
	;; [unrolled: 1-line block ×4, first 2 shown]
	v_add_f64 v[236:237], v[2:3], v[24:25]
	v_add_f64 v[10:11], v[2:3], v[10:11]
	;; [unrolled: 1-line block ×3, first 2 shown]
	scratch_store_b64 off, v[14:15], off offset:308 ; 8-byte Folded Spill
	v_add_f64 v[14:15], v[4:5], v[16:17]
	v_add_f64 v[253:254], v[2:3], v[30:31]
	;; [unrolled: 1-line block ×3, first 2 shown]
	v_fma_f64 v[182:183], v[44:45], s[16:17], v[42:43]
	v_fma_f64 v[42:43], v[44:45], s[16:17], -v[42:43]
	v_fma_f64 v[46:47], v[44:45], s[28:29], v[20:21]
	scratch_store_b64 off, v[6:7], off offset:364 ; 8-byte Folded Spill
	v_fma_f64 v[20:21], v[44:45], s[28:29], -v[20:21]
	v_fma_f64 v[48:49], v[44:45], s[24:25], v[28:29]
	v_fma_f64 v[124:125], v[44:45], s[24:25], -v[28:29]
	v_fma_f64 v[232:233], v[44:45], s[12:13], v[18:19]
	v_fma_f64 v[126:127], v[44:45], s[26:27], v[38:39]
	v_fma_f64 v[38:39], v[44:45], s[26:27], -v[38:39]
	scratch_store_b64 off, v[0:1], off offset:324 ; 8-byte Folded Spill
	v_fma_f64 v[180:181], v[44:45], s[22:23], v[40:41]
	v_fma_f64 v[40:41], v[44:45], s[22:23], -v[40:41]
	v_fma_f64 v[44:45], v[44:45], s[12:13], -v[18:19]
	v_add_f64 v[18:19], v[2:3], v[26:27]
	v_add_f64 v[52:53], v[4:5], v[182:183]
	;; [unrolled: 1-line block ×11, first 2 shown]
	scratch_store_b64 off, v[14:15], off offset:316 ; 8-byte Folded Spill
	v_add_f64 v[14:15], v[2:3], v[22:23]
	v_add_f64 v[22:23], v[2:3], v[8:9]
	;; [unrolled: 1-line block ×3, first 2 shown]
	scratch_store_b64 off, v[6:7], off offset:356 ; 8-byte Folded Spill
	v_add_f64 v[6:7], v[2:3], v[36:37]
	scratch_store_b64 off, v[0:1], off offset:332 ; 8-byte Folded Spill
	v_fma_f64 v[0:1], v[239:240], s[24:25], -v[245:246]
	scratch_store_b64 off, v[6:7], off offset:348 ; 8-byte Folded Spill
	v_add_f64 v[6:7], v[4:5], v[232:233]
	v_add_f64 v[4:5], v[192:193], -v[220:221]
	v_add_f64 v[232:233], v[194:195], -v[214:215]
	v_add_f64 v[2:3], v[0:1], v[14:15]
	v_fma_f64 v[0:1], v[241:242], s[24:25], v[32:33]
	v_fma_f64 v[32:33], v[241:242], s[24:25], -v[32:33]
	scratch_store_b64 off, v[6:7], off offset:340 ; 8-byte Folded Spill
	v_mul_f64 v[34:35], v[4:5], s[20:21]
	v_mul_f64 v[44:45], v[232:233], s[14:15]
	v_add_f64 v[12:13], v[0:1], v[46:47]
	v_add_f64 v[0:1], v[190:191], v[218:219]
	;; [unrolled: 1-line block ×3, first 2 shown]
	s_delay_alu instid0(VALU_DEP_2) | instskip(SKIP_1) | instid1(VALU_DEP_2)
	v_fma_f64 v[6:7], v[0:1], s[26:27], -v[34:35]
	v_fma_f64 v[32:33], v[0:1], s[26:27], v[34:35]
	v_add_f64 v[14:15], v[6:7], v[2:3]
	v_add_f64 v[6:7], v[190:191], -v[218:219]
	v_add_f64 v[2:3], v[192:193], v[220:221]
	s_delay_alu instid0(VALU_DEP_2) | instskip(NEXT) | instid1(VALU_DEP_1)
	v_mul_f64 v[36:37], v[6:7], s[20:21]
	v_fma_f64 v[24:25], v[2:3], s[26:27], v[36:37]
	v_fma_f64 v[34:35], v[2:3], s[26:27], -v[36:37]
	v_fma_f64 v[36:37], v[138:139], s[12:13], -v[140:141]
	v_mul_f64 v[140:141], v[232:233], s[38:39]
	s_delay_alu instid0(VALU_DEP_4) | instskip(SKIP_3) | instid1(VALU_DEP_3)
	v_add_f64 v[38:39], v[24:25], v[12:13]
	v_add_f64 v[24:25], v[196:197], -v[216:217]
	v_add_f64 v[12:13], v[194:195], v[214:215]
	v_add_f64 v[28:29], v[34:35], v[28:29]
	v_mul_f64 v[42:43], v[24:25], s[14:15]
	s_delay_alu instid0(VALU_DEP_1) | instskip(SKIP_1) | instid1(VALU_DEP_2)
	v_fma_f64 v[40:41], v[12:13], s[22:23], -v[42:43]
	v_fma_f64 v[34:35], v[12:13], s[22:23], v[42:43]
	v_add_f64 v[40:41], v[40:41], v[14:15]
	v_add_f64 v[14:15], v[196:197], v[216:217]
	s_delay_alu instid0(VALU_DEP_1) | instskip(NEXT) | instid1(VALU_DEP_1)
	v_fma_f64 v[46:47], v[14:15], s[22:23], v[44:45]
	v_add_f64 v[124:125], v[46:47], v[38:39]
	v_add_f64 v[46:47], v[200:201], -v[212:213]
	v_add_f64 v[38:39], v[198:199], v[210:211]
	s_delay_alu instid0(VALU_DEP_2) | instskip(NEXT) | instid1(VALU_DEP_1)
	v_mul_f64 v[126:127], v[46:47], s[10:11]
	v_fma_f64 v[48:49], v[38:39], s[16:17], -v[126:127]
	s_delay_alu instid0(VALU_DEP_1) | instskip(SKIP_2) | instid1(VALU_DEP_2)
	v_add_f64 v[180:181], v[48:49], v[40:41]
	v_add_f64 v[48:49], v[198:199], -v[210:211]
	v_add_f64 v[40:41], v[200:201], v[212:213]
	v_mul_f64 v[128:129], v[48:49], s[10:11]
	s_delay_alu instid0(VALU_DEP_1) | instskip(NEXT) | instid1(VALU_DEP_1)
	v_fma_f64 v[130:131], v[40:41], s[16:17], v[128:129]
	v_add_f64 v[124:125], v[130:131], v[124:125]
	v_add_f64 v[130:131], v[204:205], -v[208:209]
	s_delay_alu instid0(VALU_DEP_1) | instskip(NEXT) | instid1(VALU_DEP_1)
	v_mul_f64 v[134:135], v[130:131], s[8:9]
	v_fma_f64 v[182:183], v[132:133], s[12:13], -v[134:135]
	s_delay_alu instid0(VALU_DEP_1) | instskip(SKIP_4) | instid1(VALU_DEP_3)
	v_add_f64 v[180:181], v[182:183], v[180:181]
	v_add_f64 v[182:183], v[142:143], v[124:125]
	v_fma_f64 v[124:125], v[239:240], s[24:25], v[245:246]
	v_mul_f64 v[142:143], v[46:47], s[34:35]
	v_mul_f64 v[245:246], v[136:137], s[42:43]
	v_add_f64 v[124:125], v[124:125], v[243:244]
	s_delay_alu instid0(VALU_DEP_1) | instskip(SKIP_1) | instid1(VALU_DEP_2)
	v_add_f64 v[32:33], v[32:33], v[124:125]
	v_mul_f64 v[124:125], v[249:250], s[14:15]
	v_add_f64 v[32:33], v[34:35], v[32:33]
	v_fma_f64 v[34:35], v[14:15], s[22:23], -v[44:45]
	s_delay_alu instid0(VALU_DEP_3) | instskip(NEXT) | instid1(VALU_DEP_2)
	v_fma_f64 v[42:43], v[241:242], s[22:23], v[124:125]
	v_add_f64 v[28:29], v[34:35], v[28:29]
	v_fma_f64 v[34:35], v[38:39], s[16:17], v[126:127]
	v_mul_f64 v[126:127], v[4:5], s[8:9]
	s_delay_alu instid0(VALU_DEP_4) | instskip(SKIP_1) | instid1(VALU_DEP_4)
	v_add_f64 v[42:43], v[42:43], v[234:235]
	v_mul_f64 v[234:235], v[48:49], s[34:35]
	v_add_f64 v[32:33], v[34:35], v[32:33]
	v_fma_f64 v[34:35], v[40:41], s[16:17], -v[128:129]
	v_fma_f64 v[44:45], v[0:1], s[12:13], -v[126:127]
	v_mul_f64 v[128:129], v[6:7], s[8:9]
	s_delay_alu instid0(VALU_DEP_3) | instskip(SKIP_2) | instid1(VALU_DEP_2)
	v_add_f64 v[28:29], v[34:35], v[28:29]
	v_fma_f64 v[34:35], v[132:133], s[12:13], v[134:135]
	v_mul_f64 v[134:135], v[24:25], s[38:39]
	v_add_f64 v[32:33], v[34:35], v[32:33]
	s_delay_alu instid0(VALU_DEP_4) | instskip(SKIP_1) | instid1(VALU_DEP_1)
	v_add_f64 v[34:35], v[36:37], v[28:29]
	v_mul_f64 v[28:29], v[247:248], s[14:15]
	v_fma_f64 v[36:37], v[239:240], s[22:23], -v[28:29]
	v_fma_f64 v[28:29], v[239:240], s[22:23], v[28:29]
	s_delay_alu instid0(VALU_DEP_2) | instskip(NEXT) | instid1(VALU_DEP_2)
	v_add_f64 v[36:37], v[36:37], v[236:237]
	v_add_f64 v[22:23], v[28:29], v[22:23]
	v_fma_f64 v[28:29], v[241:242], s[22:23], -v[124:125]
	v_mul_f64 v[236:237], v[130:131], s[36:37]
	s_delay_alu instid0(VALU_DEP_4) | instskip(SKIP_1) | instid1(VALU_DEP_4)
	v_add_f64 v[36:37], v[44:45], v[36:37]
	v_fma_f64 v[44:45], v[2:3], s[12:13], v[128:129]
	v_add_f64 v[20:21], v[28:29], v[20:21]
	v_fma_f64 v[28:29], v[0:1], s[12:13], v[126:127]
	s_delay_alu instid0(VALU_DEP_3) | instskip(SKIP_1) | instid1(VALU_DEP_3)
	v_add_f64 v[42:43], v[44:45], v[42:43]
	v_fma_f64 v[44:45], v[12:13], s[16:17], -v[134:135]
	v_add_f64 v[22:23], v[28:29], v[22:23]
	v_fma_f64 v[28:29], v[2:3], s[12:13], -v[128:129]
	s_delay_alu instid0(VALU_DEP_3) | instskip(SKIP_1) | instid1(VALU_DEP_3)
	v_add_f64 v[36:37], v[44:45], v[36:37]
	v_fma_f64 v[44:45], v[14:15], s[16:17], v[140:141]
	v_add_f64 v[20:21], v[28:29], v[20:21]
	v_fma_f64 v[28:29], v[12:13], s[16:17], v[134:135]
	s_delay_alu instid0(VALU_DEP_3) | instskip(SKIP_1) | instid1(VALU_DEP_3)
	v_add_f64 v[42:43], v[44:45], v[42:43]
	v_fma_f64 v[44:45], v[38:39], s[26:27], -v[142:143]
	v_add_f64 v[22:23], v[28:29], v[22:23]
	v_fma_f64 v[28:29], v[14:15], s[16:17], -v[140:141]
	s_delay_alu instid0(VALU_DEP_3) | instskip(SKIP_1) | instid1(VALU_DEP_3)
	v_add_f64 v[36:37], v[44:45], v[36:37]
	v_fma_f64 v[44:45], v[40:41], s[26:27], v[234:235]
	v_add_f64 v[20:21], v[28:29], v[20:21]
	v_fma_f64 v[28:29], v[38:39], s[26:27], v[142:143]
	s_delay_alu instid0(VALU_DEP_3) | instskip(SKIP_1) | instid1(VALU_DEP_3)
	v_add_f64 v[44:45], v[44:45], v[42:43]
	v_fma_f64 v[42:43], v[132:133], s[28:29], -v[236:237]
	v_add_f64 v[22:23], v[28:29], v[22:23]
	v_fma_f64 v[28:29], v[40:41], s[26:27], -v[234:235]
	s_delay_alu instid0(VALU_DEP_3) | instskip(SKIP_1) | instid1(VALU_DEP_3)
	v_add_f64 v[42:43], v[42:43], v[36:37]
	v_mul_f64 v[36:37], v[136:137], s[36:37]
	v_add_f64 v[28:29], v[28:29], v[20:21]
	v_fma_f64 v[20:21], v[132:133], s[28:29], v[236:237]
	v_mul_f64 v[236:237], v[130:131], s[10:11]
	s_delay_alu instid0(VALU_DEP_4) | instskip(SKIP_1) | instid1(VALU_DEP_4)
	v_fma_f64 v[243:244], v[138:139], s[28:29], v[36:37]
	v_fma_f64 v[36:37], v[138:139], s[28:29], -v[36:37]
	v_add_f64 v[20:21], v[20:21], v[22:23]
	s_delay_alu instid0(VALU_DEP_3) | instskip(NEXT) | instid1(VALU_DEP_3)
	v_add_f64 v[44:45], v[243:244], v[44:45]
	v_add_f64 v[22:23], v[36:37], v[28:29]
	v_mul_f64 v[28:29], v[247:248], s[8:9]
	v_mul_f64 v[243:244], v[136:137], s[10:11]
	s_delay_alu instid0(VALU_DEP_2) | instskip(SKIP_1) | instid1(VALU_DEP_2)
	v_fma_f64 v[36:37], v[239:240], s[12:13], -v[28:29]
	v_fma_f64 v[28:29], v[239:240], s[12:13], v[28:29]
	v_add_f64 v[18:19], v[36:37], v[18:19]
	v_mul_f64 v[36:37], v[249:250], s[8:9]
	s_delay_alu instid0(VALU_DEP_3) | instskip(NEXT) | instid1(VALU_DEP_2)
	v_add_f64 v[10:11], v[28:29], v[10:11]
	v_fma_f64 v[124:125], v[241:242], s[12:13], v[36:37]
	v_fma_f64 v[28:29], v[241:242], s[12:13], -v[36:37]
	v_fma_f64 v[36:37], v[138:139], s[16:17], -v[243:244]
	s_delay_alu instid0(VALU_DEP_3) | instskip(SKIP_1) | instid1(VALU_DEP_4)
	v_add_f64 v[16:17], v[124:125], v[16:17]
	v_mul_f64 v[124:125], v[4:5], s[40:41]
	v_add_f64 v[8:9], v[28:29], v[8:9]
	s_delay_alu instid0(VALU_DEP_2) | instskip(SKIP_2) | instid1(VALU_DEP_3)
	v_fma_f64 v[126:127], v[0:1], s[22:23], -v[124:125]
	v_fma_f64 v[28:29], v[0:1], s[22:23], v[124:125]
	v_mul_f64 v[124:125], v[249:250], s[38:39]
	v_add_f64 v[18:19], v[126:127], v[18:19]
	v_mul_f64 v[126:127], v[6:7], s[40:41]
	s_delay_alu instid0(VALU_DEP_4) | instskip(NEXT) | instid1(VALU_DEP_2)
	v_add_f64 v[10:11], v[28:29], v[10:11]
	v_fma_f64 v[128:129], v[2:3], s[22:23], v[126:127]
	v_fma_f64 v[28:29], v[2:3], s[22:23], -v[126:127]
	v_fma_f64 v[126:127], v[241:242], s[16:17], v[124:125]
	s_delay_alu instid0(VALU_DEP_3) | instskip(SKIP_1) | instid1(VALU_DEP_4)
	v_add_f64 v[16:17], v[128:129], v[16:17]
	v_mul_f64 v[128:129], v[24:25], s[36:37]
	v_add_f64 v[8:9], v[28:29], v[8:9]
	s_delay_alu instid0(VALU_DEP_4) | instskip(SKIP_1) | instid1(VALU_DEP_4)
	v_add_f64 v[26:27], v[126:127], v[26:27]
	v_mul_f64 v[126:127], v[4:5], s[36:37]
	v_fma_f64 v[134:135], v[12:13], s[28:29], -v[128:129]
	v_fma_f64 v[28:29], v[12:13], s[28:29], v[128:129]
	s_delay_alu instid0(VALU_DEP_3) | instskip(NEXT) | instid1(VALU_DEP_3)
	v_fma_f64 v[128:129], v[0:1], s[28:29], -v[126:127]
	v_add_f64 v[18:19], v[134:135], v[18:19]
	v_mul_f64 v[134:135], v[232:233], s[36:37]
	s_delay_alu instid0(VALU_DEP_4) | instskip(NEXT) | instid1(VALU_DEP_2)
	v_add_f64 v[10:11], v[28:29], v[10:11]
	v_fma_f64 v[140:141], v[14:15], s[28:29], v[134:135]
	v_fma_f64 v[28:29], v[14:15], s[28:29], -v[134:135]
	s_delay_alu instid0(VALU_DEP_2) | instskip(SKIP_1) | instid1(VALU_DEP_3)
	v_add_f64 v[16:17], v[140:141], v[16:17]
	v_mul_f64 v[140:141], v[46:47], s[18:19]
	v_add_f64 v[8:9], v[28:29], v[8:9]
	s_delay_alu instid0(VALU_DEP_2) | instskip(SKIP_1) | instid1(VALU_DEP_2)
	v_fma_f64 v[142:143], v[38:39], s[24:25], -v[140:141]
	v_fma_f64 v[28:29], v[38:39], s[24:25], v[140:141]
	v_add_f64 v[18:19], v[142:143], v[18:19]
	v_mul_f64 v[142:143], v[48:49], s[18:19]
	s_delay_alu instid0(VALU_DEP_3) | instskip(NEXT) | instid1(VALU_DEP_2)
	v_add_f64 v[10:11], v[28:29], v[10:11]
	v_fma_f64 v[28:29], v[40:41], s[24:25], -v[142:143]
	v_fma_f64 v[234:235], v[40:41], s[24:25], v[142:143]
	s_delay_alu instid0(VALU_DEP_2) | instskip(SKIP_1) | instid1(VALU_DEP_3)
	v_add_f64 v[28:29], v[28:29], v[8:9]
	v_fma_f64 v[8:9], v[132:133], s[16:17], v[236:237]
	v_add_f64 v[234:235], v[234:235], v[16:17]
	v_fma_f64 v[16:17], v[132:133], s[16:17], -v[236:237]
	s_delay_alu instid0(VALU_DEP_3) | instskip(SKIP_2) | instid1(VALU_DEP_4)
	v_add_f64 v[8:9], v[8:9], v[10:11]
	v_add_f64 v[10:11], v[36:37], v[28:29]
	v_mul_f64 v[36:37], v[247:248], s[38:39]
	v_add_f64 v[16:17], v[16:17], v[18:19]
	v_fma_f64 v[18:19], v[138:139], s[16:17], v[243:244]
	v_mul_f64 v[243:244], v[130:131], s[42:43]
	s_delay_alu instid0(VALU_DEP_4) | instskip(SKIP_1) | instid1(VALU_DEP_4)
	v_fma_f64 v[28:29], v[239:240], s[16:17], -v[36:37]
	v_fma_f64 v[36:37], v[239:240], s[16:17], v[36:37]
	v_add_f64 v[18:19], v[18:19], v[234:235]
	s_delay_alu instid0(VALU_DEP_3) | instskip(NEXT) | instid1(VALU_DEP_3)
	v_add_f64 v[28:29], v[28:29], v[253:254]
	v_add_f64 v[30:31], v[36:37], v[30:31]
	v_fma_f64 v[36:37], v[241:242], s[16:17], -v[124:125]
	v_fma_f64 v[124:125], v[0:1], s[28:29], v[126:127]
	v_fma_f64 v[126:127], v[138:139], s[24:25], -v[245:246]
	v_mul_f64 v[253:254], v[48:49], s[36:37]
	v_add_f64 v[28:29], v[128:129], v[28:29]
	v_mul_f64 v[128:129], v[6:7], s[36:37]
	v_add_f64 v[36:37], v[36:37], v[230:231]
	v_add_f64 v[30:31], v[124:125], v[30:31]
	s_delay_alu instid0(VALU_DEP_3) | instskip(SKIP_2) | instid1(VALU_DEP_3)
	v_fma_f64 v[134:135], v[2:3], s[28:29], v[128:129]
	v_fma_f64 v[124:125], v[2:3], s[28:29], -v[128:129]
	v_mul_f64 v[128:129], v[4:5], s[18:19]
	v_add_f64 v[26:27], v[134:135], v[26:27]
	v_mul_f64 v[134:135], v[24:25], s[20:21]
	s_delay_alu instid0(VALU_DEP_4) | instskip(NEXT) | instid1(VALU_DEP_2)
	v_add_f64 v[36:37], v[124:125], v[36:37]
	v_fma_f64 v[140:141], v[12:13], s[26:27], -v[134:135]
	v_fma_f64 v[124:125], v[12:13], s[26:27], v[134:135]
	v_fma_f64 v[134:135], v[0:1], s[24:25], -v[128:129]
	s_delay_alu instid0(VALU_DEP_3) | instskip(SKIP_1) | instid1(VALU_DEP_4)
	v_add_f64 v[28:29], v[140:141], v[28:29]
	v_mul_f64 v[140:141], v[232:233], s[20:21]
	v_add_f64 v[30:31], v[124:125], v[30:31]
	s_delay_alu instid0(VALU_DEP_2) | instskip(SKIP_1) | instid1(VALU_DEP_2)
	v_fma_f64 v[142:143], v[14:15], s[26:27], v[140:141]
	v_fma_f64 v[124:125], v[14:15], s[26:27], -v[140:141]
	v_add_f64 v[26:27], v[142:143], v[26:27]
	v_mul_f64 v[142:143], v[46:47], s[44:45]
	s_delay_alu instid0(VALU_DEP_3) | instskip(NEXT) | instid1(VALU_DEP_2)
	v_add_f64 v[36:37], v[124:125], v[36:37]
	v_fma_f64 v[234:235], v[38:39], s[12:13], -v[142:143]
	v_fma_f64 v[124:125], v[38:39], s[12:13], v[142:143]
	s_delay_alu instid0(VALU_DEP_2) | instskip(SKIP_1) | instid1(VALU_DEP_3)
	v_add_f64 v[28:29], v[234:235], v[28:29]
	v_mul_f64 v[234:235], v[48:49], s[44:45]
	v_add_f64 v[30:31], v[124:125], v[30:31]
	v_mul_f64 v[48:49], v[48:49], s[14:15]
	s_delay_alu instid0(VALU_DEP_3) | instskip(SKIP_1) | instid1(VALU_DEP_2)
	v_fma_f64 v[236:237], v[40:41], s[12:13], v[234:235]
	v_fma_f64 v[124:125], v[40:41], s[12:13], -v[234:235]
	v_add_f64 v[236:237], v[236:237], v[26:27]
	v_fma_f64 v[26:27], v[132:133], s[24:25], -v[243:244]
	s_delay_alu instid0(VALU_DEP_3) | instskip(SKIP_1) | instid1(VALU_DEP_3)
	v_add_f64 v[36:37], v[124:125], v[36:37]
	v_fma_f64 v[124:125], v[132:133], s[24:25], v[243:244]
	v_add_f64 v[26:27], v[26:27], v[28:29]
	v_fma_f64 v[28:29], v[138:139], s[24:25], v[245:246]
	s_delay_alu instid0(VALU_DEP_3) | instskip(SKIP_2) | instid1(VALU_DEP_4)
	v_add_f64 v[234:235], v[124:125], v[30:31]
	v_mul_f64 v[30:31], v[247:248], s[34:35]
	v_mul_f64 v[124:125], v[249:250], s[34:35]
	v_add_f64 v[28:29], v[28:29], v[236:237]
	v_add_f64 v[236:237], v[126:127], v[36:37]
	s_delay_alu instid0(VALU_DEP_4) | instskip(NEXT) | instid1(VALU_DEP_4)
	v_fma_f64 v[36:37], v[239:240], s[26:27], -v[30:31]
	v_fma_f64 v[126:127], v[241:242], s[26:27], v[124:125]
	v_fma_f64 v[30:31], v[239:240], s[26:27], v[30:31]
	s_delay_alu instid0(VALU_DEP_3) | instskip(NEXT) | instid1(VALU_DEP_3)
	v_add_f64 v[36:37], v[36:37], v[54:55]
	v_add_f64 v[126:127], v[126:127], v[52:53]
	v_mul_f64 v[52:53], v[130:131], s[14:15]
	v_mul_f64 v[130:131], v[130:131], s[34:35]
	s_delay_alu instid0(VALU_DEP_4) | instskip(SKIP_1) | instid1(VALU_DEP_4)
	v_add_f64 v[36:37], v[134:135], v[36:37]
	v_mul_f64 v[134:135], v[6:7], s[18:19]
	v_fma_f64 v[54:55], v[132:133], s[22:23], -v[52:53]
	v_fma_f64 v[52:53], v[132:133], s[22:23], v[52:53]
	s_delay_alu instid0(VALU_DEP_3) | instskip(NEXT) | instid1(VALU_DEP_1)
	v_fma_f64 v[140:141], v[2:3], s[24:25], v[134:135]
	v_add_f64 v[126:127], v[140:141], v[126:127]
	v_mul_f64 v[140:141], v[24:25], s[44:45]
	v_mul_f64 v[24:25], v[24:25], s[42:43]
	s_delay_alu instid0(VALU_DEP_2) | instskip(NEXT) | instid1(VALU_DEP_1)
	v_fma_f64 v[142:143], v[12:13], s[12:13], -v[140:141]
	v_add_f64 v[36:37], v[142:143], v[36:37]
	v_mul_f64 v[142:143], v[232:233], s[44:45]
	s_delay_alu instid0(VALU_DEP_1) | instskip(NEXT) | instid1(VALU_DEP_1)
	v_fma_f64 v[230:231], v[14:15], s[12:13], v[142:143]
	v_add_f64 v[126:127], v[230:231], v[126:127]
	v_mul_f64 v[230:231], v[46:47], s[36:37]
	v_mul_f64 v[46:47], v[46:47], s[14:15]
	s_delay_alu instid0(VALU_DEP_2) | instskip(NEXT) | instid1(VALU_DEP_1)
	v_fma_f64 v[243:244], v[38:39], s[28:29], -v[230:231]
	v_add_f64 v[36:37], v[243:244], v[36:37]
	v_fma_f64 v[243:244], v[40:41], s[28:29], v[253:254]
	s_delay_alu instid0(VALU_DEP_1) | instskip(NEXT) | instid1(VALU_DEP_3)
	v_add_f64 v[126:127], v[243:244], v[126:127]
	v_add_f64 v[243:244], v[54:55], v[36:37]
	v_mul_f64 v[36:37], v[136:137], s[14:15]
	s_delay_alu instid0(VALU_DEP_1) | instskip(SKIP_1) | instid1(VALU_DEP_2)
	v_fma_f64 v[54:55], v[138:139], s[22:23], v[36:37]
	v_fma_f64 v[36:37], v[138:139], s[22:23], -v[36:37]
	v_add_f64 v[245:246], v[54:55], v[126:127]
	scratch_load_b64 v[54:55], off, off offset:364 ; 8-byte Folded Reload
	s_waitcnt vmcnt(0)
	v_add_f64 v[30:31], v[30:31], v[54:55]
	v_fma_f64 v[54:55], v[241:242], s[26:27], -v[124:125]
	scratch_load_b64 v[124:125], off, off offset:356 ; 8-byte Folded Reload
	s_waitcnt vmcnt(0)
	v_add_f64 v[54:55], v[54:55], v[124:125]
	v_fma_f64 v[124:125], v[0:1], s[24:25], v[128:129]
	scratch_load_b64 v[128:129], off, off offset:340 ; 8-byte Folded Reload
	v_add_f64 v[30:31], v[124:125], v[30:31]
	v_fma_f64 v[124:125], v[2:3], s[24:25], -v[134:135]
	s_delay_alu instid0(VALU_DEP_1) | instskip(SKIP_1) | instid1(VALU_DEP_1)
	v_add_f64 v[54:55], v[124:125], v[54:55]
	v_fma_f64 v[124:125], v[12:13], s[12:13], v[140:141]
	v_add_f64 v[30:31], v[124:125], v[30:31]
	v_fma_f64 v[124:125], v[14:15], s[12:13], -v[142:143]
	s_delay_alu instid0(VALU_DEP_1) | instskip(SKIP_1) | instid1(VALU_DEP_1)
	v_add_f64 v[54:55], v[124:125], v[54:55]
	v_fma_f64 v[124:125], v[38:39], s[28:29], v[230:231]
	v_add_f64 v[30:31], v[124:125], v[30:31]
	v_fma_f64 v[124:125], v[40:41], s[28:29], -v[253:254]
	s_delay_alu instid0(VALU_DEP_1) | instskip(NEXT) | instid1(VALU_DEP_3)
	v_add_f64 v[54:55], v[124:125], v[54:55]
	v_add_f64 v[124:125], v[52:53], v[30:31]
	scratch_load_b64 v[52:53], off, off offset:348 ; 8-byte Folded Reload
	v_mul_f64 v[30:31], v[247:248], s[36:37]
	v_add_f64 v[126:127], v[36:37], v[54:55]
	s_delay_alu instid0(VALU_DEP_2) | instskip(SKIP_2) | instid1(VALU_DEP_2)
	v_fma_f64 v[36:37], v[239:240], s[28:29], -v[30:31]
	v_fma_f64 v[30:31], v[239:240], s[28:29], v[30:31]
	s_waitcnt vmcnt(0)
	v_add_f64 v[36:37], v[36:37], v[52:53]
	v_mul_f64 v[52:53], v[249:250], s[36:37]
	s_delay_alu instid0(VALU_DEP_1) | instskip(SKIP_1) | instid1(VALU_DEP_2)
	v_fma_f64 v[54:55], v[241:242], s[28:29], v[52:53]
	v_fma_f64 v[52:53], v[241:242], s[28:29], -v[52:53]
	v_add_f64 v[54:55], v[54:55], v[128:129]
	v_mul_f64 v[128:129], v[4:5], s[10:11]
	s_delay_alu instid0(VALU_DEP_1) | instskip(SKIP_1) | instid1(VALU_DEP_2)
	v_fma_f64 v[4:5], v[0:1], s[16:17], -v[128:129]
	v_fma_f64 v[0:1], v[0:1], s[16:17], v[128:129]
	v_add_f64 v[4:5], v[4:5], v[36:37]
	v_mul_f64 v[36:37], v[6:7], s[10:11]
	s_delay_alu instid0(VALU_DEP_1)
	v_fma_f64 v[6:7], v[2:3], s[16:17], v[36:37]
	v_fma_f64 v[2:3], v[2:3], s[16:17], -v[36:37]
	scratch_load_b64 v[36:37], off, off offset:324 ; 8-byte Folded Reload
	v_add_f64 v[6:7], v[6:7], v[54:55]
	v_fma_f64 v[54:55], v[12:13], s[24:25], -v[24:25]
	v_fma_f64 v[12:13], v[12:13], s[24:25], v[24:25]
	v_fma_f64 v[24:25], v[38:39], s[22:23], v[46:47]
	s_delay_alu instid0(VALU_DEP_3) | instskip(SKIP_1) | instid1(VALU_DEP_1)
	v_add_f64 v[4:5], v[54:55], v[4:5]
	v_mul_f64 v[54:55], v[232:233], s[42:43]
	v_fma_f64 v[134:135], v[14:15], s[24:25], v[54:55]
	v_fma_f64 v[14:15], v[14:15], s[24:25], -v[54:55]
	s_delay_alu instid0(VALU_DEP_2) | instskip(SKIP_1) | instid1(VALU_DEP_1)
	v_add_f64 v[6:7], v[134:135], v[6:7]
	v_fma_f64 v[134:135], v[38:39], s[22:23], -v[46:47]
	v_add_f64 v[4:5], v[134:135], v[4:5]
	v_fma_f64 v[134:135], v[40:41], s[22:23], v[48:49]
	s_delay_alu instid0(VALU_DEP_1) | instskip(SKIP_2) | instid1(VALU_DEP_1)
	v_add_f64 v[6:7], v[134:135], v[6:7]
	v_mul_f64 v[134:135], v[136:137], s[34:35]
	v_fma_f64 v[136:137], v[132:133], s[26:27], -v[130:131]
	v_add_f64 v[4:5], v[136:137], v[4:5]
	s_delay_alu instid0(VALU_DEP_3) | instskip(NEXT) | instid1(VALU_DEP_1)
	v_fma_f64 v[136:137], v[138:139], s[26:27], v[134:135]
	v_add_f64 v[6:7], v[136:137], v[6:7]
	s_waitcnt vmcnt(0)
	v_add_f64 v[30:31], v[30:31], v[36:37]
	scratch_load_b64 v[36:37], off, off offset:332 ; 8-byte Folded Reload
	v_add_f64 v[0:1], v[0:1], v[30:31]
	v_fma_f64 v[30:31], v[40:41], s[22:23], -v[48:49]
	s_delay_alu instid0(VALU_DEP_2) | instskip(SKIP_1) | instid1(VALU_DEP_2)
	v_add_f64 v[0:1], v[12:13], v[0:1]
	v_fma_f64 v[12:13], v[132:133], s[26:27], v[130:131]
	v_add_f64 v[0:1], v[24:25], v[0:1]
	s_delay_alu instid0(VALU_DEP_1) | instskip(SKIP_3) | instid1(VALU_DEP_1)
	v_add_f64 v[0:1], v[12:13], v[0:1]
	scratch_load_b64 v[12:13], off, off offset:308 ; 8-byte Folded Reload
	s_waitcnt vmcnt(1)
	v_add_f64 v[36:37], v[52:53], v[36:37]
	v_add_f64 v[2:3], v[2:3], v[36:37]
	s_delay_alu instid0(VALU_DEP_1) | instskip(SKIP_1) | instid1(VALU_DEP_2)
	v_add_f64 v[2:3], v[14:15], v[2:3]
	v_fma_f64 v[14:15], v[138:139], s[26:27], -v[134:135]
	v_add_f64 v[2:3], v[30:31], v[2:3]
	s_delay_alu instid0(VALU_DEP_1) | instskip(SKIP_3) | instid1(VALU_DEP_1)
	v_add_f64 v[2:3], v[14:15], v[2:3]
	scratch_load_b64 v[14:15], off, off offset:316 ; 8-byte Folded Reload
	s_waitcnt vmcnt(1)
	v_add_f64 v[12:13], v[12:13], v[186:187]
	v_add_f64 v[12:13], v[12:13], v[190:191]
	s_delay_alu instid0(VALU_DEP_1) | instskip(NEXT) | instid1(VALU_DEP_1)
	v_add_f64 v[12:13], v[12:13], v[194:195]
	v_add_f64 v[12:13], v[12:13], v[198:199]
	s_delay_alu instid0(VALU_DEP_1) | instskip(NEXT) | instid1(VALU_DEP_1)
	;; [unrolled: 3-line block ×3, first 2 shown]
	v_add_f64 v[12:13], v[12:13], v[210:211]
	v_add_f64 v[12:13], v[12:13], v[214:215]
	s_delay_alu instid0(VALU_DEP_1) | instskip(SKIP_2) | instid1(VALU_DEP_2)
	v_add_f64 v[12:13], v[12:13], v[218:219]
	s_waitcnt vmcnt(0)
	v_add_f64 v[14:15], v[14:15], v[188:189]
	v_add_f64 v[12:13], v[12:13], v[222:223]
	s_delay_alu instid0(VALU_DEP_2) | instskip(NEXT) | instid1(VALU_DEP_2)
	v_add_f64 v[14:15], v[14:15], v[192:193]
	v_add_f64 v[12:13], v[12:13], v[228:229]
	s_delay_alu instid0(VALU_DEP_2) | instskip(NEXT) | instid1(VALU_DEP_1)
	v_add_f64 v[14:15], v[14:15], v[196:197]
	v_add_f64 v[14:15], v[14:15], v[200:201]
	s_delay_alu instid0(VALU_DEP_1) | instskip(NEXT) | instid1(VALU_DEP_1)
	v_add_f64 v[14:15], v[14:15], v[204:205]
	v_add_f64 v[14:15], v[14:15], v[208:209]
	s_delay_alu instid0(VALU_DEP_1) | instskip(NEXT) | instid1(VALU_DEP_1)
	v_add_f64 v[14:15], v[14:15], v[212:213]
	v_add_f64 v[14:15], v[14:15], v[216:217]
	s_delay_alu instid0(VALU_DEP_1) | instskip(NEXT) | instid1(VALU_DEP_1)
	v_add_f64 v[14:15], v[14:15], v[220:221]
	v_add_f64 v[14:15], v[14:15], v[224:225]
	s_delay_alu instid0(VALU_DEP_1)
	v_add_f64 v[14:15], v[14:15], v[226:227]
	ds_store_b128 v51, v[42:45] offset:2496
	ds_store_b128 v51, v[16:19] offset:3744
	;; [unrolled: 1-line block ×12, first 2 shown]
	ds_store_b128 v51, v[12:15]
	v_add_co_u32 v16, s0, 0x3f60, v50
	s_waitcnt lgkmcnt(0)
	s_waitcnt_vscnt null, 0x0
	s_barrier
	buffer_gl0_inv
	v_add_co_ci_u32_e64 v17, s0, 0, v238, s0
	s_clause 0x1
	global_load_b128 v[0:3], v[184:185], off offset:3936
	global_load_b128 v[4:7], v[16:17], off offset:1248
	ds_load_b128 v[8:11], v51
	ds_load_b128 v[12:15], v51 offset:1248
	s_waitcnt vmcnt(1) lgkmcnt(1)
	v_mul_f64 v[18:19], v[10:11], v[2:3]
	v_mul_f64 v[2:3], v[8:9], v[2:3]
	s_delay_alu instid0(VALU_DEP_2) | instskip(NEXT) | instid1(VALU_DEP_2)
	v_fma_f64 v[180:181], v[8:9], v[0:1], -v[18:19]
	v_fma_f64 v[182:183], v[10:11], v[0:1], v[2:3]
	s_waitcnt vmcnt(0) lgkmcnt(0)
	v_mul_f64 v[0:1], v[14:15], v[6:7]
	v_mul_f64 v[2:3], v[12:13], v[6:7]
	s_delay_alu instid0(VALU_DEP_2) | instskip(NEXT) | instid1(VALU_DEP_2)
	v_fma_f64 v[184:185], v[12:13], v[4:5], -v[0:1]
	v_fma_f64 v[186:187], v[14:15], v[4:5], v[2:3]
	s_clause 0x1
	global_load_b128 v[0:3], v[16:17], off offset:2496
	global_load_b128 v[4:7], v[16:17], off offset:3744
	ds_load_b128 v[8:11], v51 offset:2496
	ds_load_b128 v[12:15], v51 offset:3744
	s_waitcnt vmcnt(1) lgkmcnt(1)
	v_mul_f64 v[16:17], v[10:11], v[2:3]
	v_mul_f64 v[2:3], v[8:9], v[2:3]
	s_delay_alu instid0(VALU_DEP_2) | instskip(NEXT) | instid1(VALU_DEP_2)
	v_fma_f64 v[188:189], v[8:9], v[0:1], -v[16:17]
	v_fma_f64 v[190:191], v[10:11], v[0:1], v[2:3]
	s_waitcnt vmcnt(0) lgkmcnt(0)
	v_mul_f64 v[0:1], v[14:15], v[6:7]
	v_mul_f64 v[2:3], v[12:13], v[6:7]
	v_add_co_u32 v16, s0, 0x5000, v50
	s_delay_alu instid0(VALU_DEP_1) | instskip(SKIP_1) | instid1(VALU_DEP_1)
	v_add_co_ci_u32_e64 v17, s0, 0, v238, s0
	v_add_co_u32 v24, s0, 0x6000, v50
	v_add_co_ci_u32_e64 v25, s0, 0, v238, s0
	v_add_co_u32 v40, s0, 0x7000, v50
	s_delay_alu instid0(VALU_DEP_1)
	v_add_co_ci_u32_e64 v41, s0, 0, v238, s0
	v_fma_f64 v[192:193], v[12:13], v[4:5], -v[0:1]
	v_fma_f64 v[194:195], v[14:15], v[4:5], v[2:3]
	s_clause 0x1
	global_load_b128 v[0:3], v[16:17], off offset:736
	global_load_b128 v[4:7], v[16:17], off offset:1984
	ds_load_b128 v[8:11], v51 offset:4992
	ds_load_b128 v[12:15], v51 offset:6240
	s_waitcnt vmcnt(1) lgkmcnt(1)
	v_mul_f64 v[18:19], v[10:11], v[2:3]
	v_mul_f64 v[2:3], v[8:9], v[2:3]
	s_delay_alu instid0(VALU_DEP_2) | instskip(NEXT) | instid1(VALU_DEP_2)
	v_fma_f64 v[8:9], v[8:9], v[0:1], -v[18:19]
	v_fma_f64 v[10:11], v[10:11], v[0:1], v[2:3]
	s_waitcnt vmcnt(0) lgkmcnt(0)
	v_mul_f64 v[0:1], v[14:15], v[6:7]
	v_mul_f64 v[2:3], v[12:13], v[6:7]
	s_delay_alu instid0(VALU_DEP_2) | instskip(NEXT) | instid1(VALU_DEP_2)
	v_fma_f64 v[0:1], v[12:13], v[4:5], -v[0:1]
	v_fma_f64 v[2:3], v[14:15], v[4:5], v[2:3]
	s_clause 0x1
	global_load_b128 v[4:7], v[16:17], off offset:3232
	global_load_b128 v[12:15], v[24:25], off offset:384
	ds_load_b128 v[16:19], v51 offset:7488
	ds_load_b128 v[20:23], v51 offset:8736
	s_waitcnt vmcnt(1) lgkmcnt(1)
	v_mul_f64 v[26:27], v[18:19], v[6:7]
	v_mul_f64 v[6:7], v[16:17], v[6:7]
	s_delay_alu instid0(VALU_DEP_2) | instskip(NEXT) | instid1(VALU_DEP_2)
	v_fma_f64 v[16:17], v[16:17], v[4:5], -v[26:27]
	v_fma_f64 v[18:19], v[18:19], v[4:5], v[6:7]
	s_waitcnt vmcnt(0) lgkmcnt(0)
	v_mul_f64 v[4:5], v[22:23], v[14:15]
	v_mul_f64 v[6:7], v[20:21], v[14:15]
	s_delay_alu instid0(VALU_DEP_2) | instskip(NEXT) | instid1(VALU_DEP_2)
	;; [unrolled: 17-line block ×4, first 2 shown]
	v_fma_f64 v[20:21], v[36:37], v[28:29], -v[20:21]
	v_fma_f64 v[22:23], v[38:39], v[28:29], v[22:23]
	global_load_b128 v[28:31], v[40:41], off offset:2528
	ds_load_b128 v[36:39], v51 offset:14976
	s_waitcnt vmcnt(0) lgkmcnt(0)
	v_mul_f64 v[40:41], v[38:39], v[30:31]
	v_mul_f64 v[30:31], v[36:37], v[30:31]
	s_delay_alu instid0(VALU_DEP_2) | instskip(NEXT) | instid1(VALU_DEP_2)
	v_fma_f64 v[36:37], v[36:37], v[28:29], -v[40:41]
	v_fma_f64 v[38:39], v[38:39], v[28:29], v[30:31]
	ds_store_b128 v51, v[180:183]
	ds_store_b128 v51, v[184:187] offset:1248
	ds_store_b128 v51, v[188:191] offset:2496
	;; [unrolled: 1-line block ×12, first 2 shown]
	s_waitcnt lgkmcnt(0)
	s_barrier
	buffer_gl0_inv
	ds_load_b128 v[180:183], v51
	ds_load_b128 v[184:187], v51 offset:1248
	ds_load_b128 v[188:191], v51 offset:2496
	;; [unrolled: 1-line block ×9, first 2 shown]
	s_waitcnt lgkmcnt(8)
	v_add_f64 v[0:1], v[180:181], v[184:185]
	v_add_f64 v[2:3], v[182:183], v[186:187]
	s_waitcnt lgkmcnt(2)
	v_add_f64 v[212:213], v[206:207], v[210:211]
	s_waitcnt lgkmcnt(1)
	v_add_f64 v[36:37], v[202:203], v[10:11]
	v_add_f64 v[38:39], v[202:203], -v[10:11]
	v_add_f64 v[0:1], v[0:1], v[188:189]
	v_add_f64 v[2:3], v[2:3], v[190:191]
	s_delay_alu instid0(VALU_DEP_2) | instskip(NEXT) | instid1(VALU_DEP_2)
	v_add_f64 v[0:1], v[0:1], v[192:193]
	v_add_f64 v[2:3], v[2:3], v[194:195]
	s_delay_alu instid0(VALU_DEP_2) | instskip(NEXT) | instid1(VALU_DEP_2)
	;; [unrolled: 3-line block ×4, first 2 shown]
	v_add_f64 v[4:5], v[0:1], v[204:205]
	v_add_f64 v[6:7], v[2:3], v[206:207]
	;; [unrolled: 1-line block ×3, first 2 shown]
	v_add_f64 v[2:3], v[204:205], -v[208:209]
	v_add_f64 v[204:205], v[206:207], -v[210:211]
	v_add_f64 v[16:17], v[4:5], v[208:209]
	v_add_f64 v[18:19], v[6:7], v[210:211]
	;; [unrolled: 1-line block ×3, first 2 shown]
	v_add_f64 v[6:7], v[200:201], -v[8:9]
	s_waitcnt lgkmcnt(0)
	v_add_f64 v[200:201], v[198:199], v[14:15]
	v_add_f64 v[16:17], v[16:17], v[8:9]
	v_add_f64 v[18:19], v[18:19], v[10:11]
	v_add_f64 v[8:9], v[196:197], v[12:13]
	v_add_f64 v[10:11], v[196:197], -v[12:13]
	v_add_f64 v[196:197], v[198:199], -v[14:15]
	v_add_f64 v[24:25], v[16:17], v[12:13]
	v_add_f64 v[26:27], v[18:19], v[14:15]
	ds_load_b128 v[16:19], v51 offset:12480
	ds_load_b128 v[20:23], v51 offset:13728
	s_waitcnt lgkmcnt(1)
	v_add_f64 v[12:13], v[192:193], v[16:17]
	v_add_f64 v[198:199], v[194:195], v[18:19]
	v_add_f64 v[14:15], v[192:193], -v[16:17]
	v_add_f64 v[202:203], v[194:195], -v[18:19]
	s_waitcnt lgkmcnt(0)
	v_add_f64 v[206:207], v[190:191], v[22:23]
	v_add_f64 v[208:209], v[190:191], -v[22:23]
	v_add_f64 v[24:25], v[24:25], v[16:17]
	v_add_f64 v[26:27], v[26:27], v[18:19]
	;; [unrolled: 1-line block ×3, first 2 shown]
	v_add_f64 v[18:19], v[188:189], -v[20:21]
	s_delay_alu instid0(VALU_DEP_4) | instskip(NEXT) | instid1(VALU_DEP_4)
	v_add_f64 v[24:25], v[24:25], v[20:21]
	v_add_f64 v[26:27], v[26:27], v[22:23]
	ds_load_b128 v[20:23], v51 offset:14976
	s_waitcnt lgkmcnt(0)
	s_barrier
	buffer_gl0_inv
	v_add_f64 v[28:29], v[186:187], -v[22:23]
	v_add_f64 v[30:31], v[184:185], v[20:21]
	v_add_f64 v[34:35], v[184:185], -v[20:21]
	v_add_f64 v[32:33], v[186:187], v[22:23]
	v_add_f64 v[184:185], v[24:25], v[20:21]
	;; [unrolled: 1-line block ×3, first 2 shown]
	v_mul_f64 v[24:25], v[28:29], s[20:21]
	v_mul_f64 v[20:21], v[28:29], s[30:31]
	;; [unrolled: 1-line block ×9, first 2 shown]
	v_fma_f64 v[48:49], v[30:31], s[26:27], v[24:25]
	v_fma_f64 v[24:25], v[30:31], s[26:27], -v[24:25]
	v_fma_f64 v[42:43], v[30:31], s[28:29], v[20:21]
	v_fma_f64 v[20:21], v[30:31], s[28:29], -v[20:21]
	v_fma_f64 v[44:45], v[30:31], s[24:25], v[22:23]
	v_fma_f64 v[46:47], v[30:31], s[24:25], -v[22:23]
	v_fma_f64 v[52:53], v[30:31], s[22:23], v[26:27]
	v_fma_f64 v[26:27], v[30:31], s[22:23], -v[26:27]
	v_fma_f64 v[54:55], v[30:31], s[16:17], v[40:41]
	v_fma_f64 v[40:41], v[30:31], s[16:17], -v[40:41]
	v_fma_f64 v[124:125], v[30:31], s[12:13], v[28:29]
	v_fma_f64 v[28:29], v[30:31], s[12:13], -v[28:29]
	v_mul_f64 v[22:23], v[32:33], s[28:29]
	v_mul_f64 v[30:31], v[32:33], s[24:25]
	;; [unrolled: 1-line block ×3, first 2 shown]
	v_fma_f64 v[136:137], v[34:35], s[34:35], v[126:127]
	v_fma_f64 v[126:127], v[34:35], s[20:21], v[126:127]
	;; [unrolled: 1-line block ×6, first 2 shown]
	v_add_f64 v[48:49], v[180:181], v[48:49]
	v_add_f64 v[222:223], v[180:181], v[24:25]
	v_mul_f64 v[24:25], v[208:209], s[18:19]
	v_add_f64 v[20:21], v[180:181], v[20:21]
	v_add_f64 v[210:211], v[180:181], v[44:45]
	;; [unrolled: 1-line block ×8, first 2 shown]
	v_fma_f64 v[132:133], v[34:35], s[36:37], v[22:23]
	v_fma_f64 v[22:23], v[34:35], s[30:31], v[22:23]
	;; [unrolled: 1-line block ×6, first 2 shown]
	v_add_f64 v[34:35], v[180:181], v[42:43]
	v_add_f64 v[42:43], v[180:181], v[124:125]
	;; [unrolled: 1-line block ×4, first 2 shown]
	v_mul_f64 v[180:181], v[38:39], s[10:11]
	v_add_f64 v[136:137], v[182:183], v[136:137]
	v_add_f64 v[138:139], v[182:183], v[138:139]
	;; [unrolled: 1-line block ×4, first 2 shown]
	v_fma_f64 v[26:27], v[16:17], s[24:25], v[24:25]
	v_add_f64 v[132:133], v[182:183], v[132:133]
	v_add_f64 v[22:23], v[182:183], v[22:23]
	;; [unrolled: 1-line block ×6, first 2 shown]
	v_mul_f64 v[182:183], v[36:37], s[16:17]
	v_mul_f64 v[142:143], v[208:209], s[14:15]
	v_add_f64 v[30:31], v[26:27], v[34:35]
	v_mul_f64 v[26:27], v[206:207], s[24:25]
	s_delay_alu instid0(VALU_DEP_1) | instskip(NEXT) | instid1(VALU_DEP_1)
	v_fma_f64 v[28:29], v[18:19], s[42:43], v[26:27]
	v_add_f64 v[32:33], v[28:29], v[132:133]
	v_mul_f64 v[28:29], v[202:203], s[20:21]
	s_delay_alu instid0(VALU_DEP_1) | instskip(NEXT) | instid1(VALU_DEP_1)
	v_fma_f64 v[34:35], v[12:13], s[26:27], v[28:29]
	;; [unrolled: 4-line block ×5, first 2 shown]
	v_add_f64 v[124:125], v[130:131], v[124:125]
	v_fma_f64 v[130:131], v[4:5], s[16:17], v[180:181]
	s_delay_alu instid0(VALU_DEP_1) | instskip(SKIP_1) | instid1(VALU_DEP_1)
	v_add_f64 v[126:127], v[130:131], v[126:127]
	v_fma_f64 v[130:131], v[6:7], s[38:39], v[182:183]
	v_add_f64 v[124:125], v[130:131], v[124:125]
	v_mul_f64 v[130:131], v[204:205], s[8:9]
	s_delay_alu instid0(VALU_DEP_1) | instskip(NEXT) | instid1(VALU_DEP_1)
	v_fma_f64 v[132:133], v[0:1], s[12:13], v[130:131]
	v_add_f64 v[188:189], v[132:133], v[126:127]
	v_mul_f64 v[132:133], v[212:213], s[12:13]
	s_delay_alu instid0(VALU_DEP_1) | instskip(NEXT) | instid1(VALU_DEP_1)
	v_fma_f64 v[126:127], v[2:3], s[44:45], v[132:133]
	v_add_f64 v[190:191], v[126:127], v[124:125]
	v_fma_f64 v[124:125], v[16:17], s[22:23], v[142:143]
	v_fma_f64 v[142:143], v[16:17], s[22:23], -v[142:143]
	s_delay_alu instid0(VALU_DEP_2) | instskip(SKIP_1) | instid1(VALU_DEP_3)
	v_add_f64 v[124:125], v[124:125], v[210:211]
	v_mul_f64 v[210:211], v[206:207], s[22:23]
	v_add_f64 v[142:143], v[142:143], v[214:215]
	s_delay_alu instid0(VALU_DEP_2) | instskip(SKIP_1) | instid1(VALU_DEP_2)
	v_fma_f64 v[126:127], v[18:19], s[40:41], v[210:211]
	v_fma_f64 v[210:211], v[18:19], s[14:15], v[210:211]
	v_add_f64 v[126:127], v[126:127], v[134:135]
	v_mul_f64 v[134:135], v[202:203], s[8:9]
	s_delay_alu instid0(VALU_DEP_3) | instskip(NEXT) | instid1(VALU_DEP_2)
	v_add_f64 v[210:211], v[210:211], v[216:217]
	v_fma_f64 v[218:219], v[12:13], s[12:13], v[134:135]
	v_fma_f64 v[134:135], v[12:13], s[12:13], -v[134:135]
	s_delay_alu instid0(VALU_DEP_2) | instskip(SKIP_1) | instid1(VALU_DEP_3)
	v_add_f64 v[124:125], v[218:219], v[124:125]
	v_mul_f64 v[218:219], v[198:199], s[12:13]
	v_add_f64 v[134:135], v[134:135], v[142:143]
	s_delay_alu instid0(VALU_DEP_2) | instskip(SKIP_1) | instid1(VALU_DEP_2)
	v_fma_f64 v[220:221], v[14:15], s[44:45], v[218:219]
	v_fma_f64 v[142:143], v[14:15], s[8:9], v[218:219]
	v_add_f64 v[126:127], v[220:221], v[126:127]
	v_mul_f64 v[220:221], v[196:197], s[38:39]
	s_delay_alu instid0(VALU_DEP_3) | instskip(NEXT) | instid1(VALU_DEP_2)
	v_add_f64 v[142:143], v[142:143], v[210:211]
	v_fma_f64 v[226:227], v[8:9], s[16:17], v[220:221]
	v_fma_f64 v[210:211], v[8:9], s[16:17], -v[220:221]
	s_delay_alu instid0(VALU_DEP_2) | instskip(SKIP_1) | instid1(VALU_DEP_3)
	v_add_f64 v[124:125], v[226:227], v[124:125]
	v_mul_f64 v[226:227], v[200:201], s[16:17]
	v_add_f64 v[134:135], v[210:211], v[134:135]
	s_delay_alu instid0(VALU_DEP_2) | instskip(SKIP_2) | instid1(VALU_DEP_3)
	v_fma_f64 v[228:229], v[10:11], s[10:11], v[226:227]
	v_fma_f64 v[210:211], v[10:11], s[38:39], v[226:227]
	v_mul_f64 v[226:227], v[198:199], s[22:23]
	v_add_f64 v[126:127], v[228:229], v[126:127]
	v_mul_f64 v[228:229], v[38:39], s[34:35]
	s_delay_alu instid0(VALU_DEP_4) | instskip(NEXT) | instid1(VALU_DEP_2)
	v_add_f64 v[142:143], v[210:211], v[142:143]
	v_fma_f64 v[232:233], v[4:5], s[26:27], v[228:229]
	v_fma_f64 v[210:211], v[4:5], s[26:27], -v[228:229]
	v_mul_f64 v[228:229], v[196:197], s[36:37]
	s_delay_alu instid0(VALU_DEP_3) | instskip(SKIP_1) | instid1(VALU_DEP_4)
	v_add_f64 v[124:125], v[232:233], v[124:125]
	v_mul_f64 v[232:233], v[36:37], s[26:27]
	v_add_f64 v[134:135], v[210:211], v[134:135]
	s_delay_alu instid0(VALU_DEP_2) | instskip(SKIP_2) | instid1(VALU_DEP_3)
	v_fma_f64 v[234:235], v[6:7], s[20:21], v[232:233]
	v_fma_f64 v[210:211], v[6:7], s[34:35], v[232:233]
	v_mul_f64 v[232:233], v[200:201], s[28:29]
	v_add_f64 v[126:127], v[234:235], v[126:127]
	v_mul_f64 v[234:235], v[204:205], s[36:37]
	s_delay_alu instid0(VALU_DEP_4) | instskip(NEXT) | instid1(VALU_DEP_2)
	v_add_f64 v[142:143], v[210:211], v[142:143]
	v_fma_f64 v[236:237], v[0:1], s[28:29], v[234:235]
	v_fma_f64 v[210:211], v[0:1], s[28:29], -v[234:235]
	v_mul_f64 v[234:235], v[38:39], s[18:19]
	s_delay_alu instid0(VALU_DEP_3) | instskip(SKIP_1) | instid1(VALU_DEP_4)
	v_add_f64 v[124:125], v[236:237], v[124:125]
	v_mul_f64 v[236:237], v[212:213], s[28:29]
	v_add_f64 v[214:215], v[210:211], v[134:135]
	v_mul_f64 v[134:135], v[208:209], s[8:9]
	s_delay_alu instid0(VALU_DEP_3) | instskip(SKIP_2) | instid1(VALU_DEP_3)
	v_fma_f64 v[216:217], v[2:3], s[36:37], v[236:237]
	v_fma_f64 v[238:239], v[2:3], s[30:31], v[236:237]
	v_mul_f64 v[236:237], v[36:37], s[24:25]
	v_add_f64 v[216:217], v[216:217], v[142:143]
	v_fma_f64 v[142:143], v[16:17], s[12:13], v[134:135]
	s_delay_alu instid0(VALU_DEP_4) | instskip(SKIP_2) | instid1(VALU_DEP_4)
	v_add_f64 v[126:127], v[238:239], v[126:127]
	v_mul_f64 v[238:239], v[204:205], s[10:11]
	v_fma_f64 v[134:135], v[16:17], s[12:13], -v[134:135]
	v_add_f64 v[48:49], v[142:143], v[48:49]
	v_mul_f64 v[142:143], v[206:207], s[12:13]
	s_delay_alu instid0(VALU_DEP_3) | instskip(NEXT) | instid1(VALU_DEP_2)
	v_add_f64 v[134:135], v[134:135], v[222:223]
	v_fma_f64 v[210:211], v[18:19], s[44:45], v[142:143]
	s_delay_alu instid0(VALU_DEP_1) | instskip(SKIP_1) | instid1(VALU_DEP_1)
	v_add_f64 v[136:137], v[210:211], v[136:137]
	v_mul_f64 v[210:211], v[202:203], s[40:41]
	v_fma_f64 v[218:219], v[12:13], s[22:23], v[210:211]
	s_delay_alu instid0(VALU_DEP_1) | instskip(SKIP_1) | instid1(VALU_DEP_1)
	v_add_f64 v[48:49], v[218:219], v[48:49]
	v_fma_f64 v[218:219], v[14:15], s[14:15], v[226:227]
	v_add_f64 v[136:137], v[218:219], v[136:137]
	v_fma_f64 v[218:219], v[8:9], s[28:29], v[228:229]
	s_delay_alu instid0(VALU_DEP_1) | instskip(SKIP_1) | instid1(VALU_DEP_1)
	v_add_f64 v[48:49], v[218:219], v[48:49]
	v_fma_f64 v[218:219], v[10:11], s[30:31], v[232:233]
	v_add_f64 v[136:137], v[218:219], v[136:137]
	;; [unrolled: 5-line block ×3, first 2 shown]
	v_fma_f64 v[218:219], v[0:1], s[16:17], v[238:239]
	s_delay_alu instid0(VALU_DEP_1) | instskip(SKIP_1) | instid1(VALU_DEP_1)
	v_add_f64 v[218:219], v[218:219], v[48:49]
	v_mul_f64 v[48:49], v[212:213], s[16:17]
	v_fma_f64 v[220:221], v[2:3], s[38:39], v[48:49]
	v_fma_f64 v[48:49], v[2:3], s[10:11], v[48:49]
	s_delay_alu instid0(VALU_DEP_2) | instskip(SKIP_2) | instid1(VALU_DEP_2)
	v_add_f64 v[220:221], v[220:221], v[136:137]
	v_fma_f64 v[136:137], v[18:19], s[8:9], v[142:143]
	v_fma_f64 v[142:143], v[12:13], s[22:23], -v[210:211]
	v_add_f64 v[136:137], v[136:137], v[224:225]
	s_delay_alu instid0(VALU_DEP_2) | instskip(SKIP_1) | instid1(VALU_DEP_1)
	v_add_f64 v[134:135], v[142:143], v[134:135]
	v_fma_f64 v[142:143], v[14:15], s[40:41], v[226:227]
	v_add_f64 v[136:137], v[142:143], v[136:137]
	v_fma_f64 v[142:143], v[8:9], s[28:29], -v[228:229]
	s_delay_alu instid0(VALU_DEP_1) | instskip(SKIP_2) | instid1(VALU_DEP_2)
	v_add_f64 v[134:135], v[142:143], v[134:135]
	v_fma_f64 v[142:143], v[10:11], s[36:37], v[232:233]
	v_mul_f64 v[232:233], v[200:201], s[26:27]
	v_add_f64 v[136:137], v[142:143], v[136:137]
	v_fma_f64 v[142:143], v[4:5], s[24:25], -v[234:235]
	v_mul_f64 v[234:235], v[38:39], s[44:45]
	s_delay_alu instid0(VALU_DEP_2) | instskip(SKIP_2) | instid1(VALU_DEP_2)
	v_add_f64 v[134:135], v[142:143], v[134:135]
	v_fma_f64 v[142:143], v[6:7], s[18:19], v[236:237]
	v_mul_f64 v[236:237], v[36:37], s[12:13]
	v_add_f64 v[136:137], v[142:143], v[136:137]
	v_fma_f64 v[142:143], v[0:1], s[16:17], -v[238:239]
	v_mul_f64 v[238:239], v[204:205], s[42:43]
	s_delay_alu instid0(VALU_DEP_3) | instskip(SKIP_1) | instid1(VALU_DEP_4)
	v_add_f64 v[224:225], v[48:49], v[136:137]
	v_mul_f64 v[48:49], v[208:209], s[38:39]
	v_add_f64 v[222:223], v[142:143], v[134:135]
	s_delay_alu instid0(VALU_DEP_2) | instskip(SKIP_1) | instid1(VALU_DEP_2)
	v_fma_f64 v[134:135], v[16:17], s[16:17], v[48:49]
	v_fma_f64 v[48:49], v[16:17], s[16:17], -v[48:49]
	v_add_f64 v[52:53], v[134:135], v[52:53]
	v_mul_f64 v[134:135], v[206:207], s[16:17]
	s_delay_alu instid0(VALU_DEP_3) | instskip(NEXT) | instid1(VALU_DEP_2)
	v_add_f64 v[48:49], v[48:49], v[230:231]
	v_fma_f64 v[136:137], v[18:19], s[10:11], v[134:135]
	v_fma_f64 v[134:135], v[18:19], s[38:39], v[134:135]
	s_delay_alu instid0(VALU_DEP_2) | instskip(SKIP_1) | instid1(VALU_DEP_3)
	v_add_f64 v[136:137], v[136:137], v[138:139]
	v_mul_f64 v[138:139], v[202:203], s[36:37]
	v_add_f64 v[128:129], v[134:135], v[128:129]
	s_delay_alu instid0(VALU_DEP_2) | instskip(SKIP_1) | instid1(VALU_DEP_2)
	v_fma_f64 v[142:143], v[12:13], s[28:29], v[138:139]
	v_fma_f64 v[134:135], v[12:13], s[28:29], -v[138:139]
	v_add_f64 v[52:53], v[142:143], v[52:53]
	v_mul_f64 v[142:143], v[198:199], s[28:29]
	s_delay_alu instid0(VALU_DEP_3) | instskip(NEXT) | instid1(VALU_DEP_2)
	v_add_f64 v[48:49], v[134:135], v[48:49]
	v_fma_f64 v[210:211], v[14:15], s[30:31], v[142:143]
	v_fma_f64 v[134:135], v[14:15], s[36:37], v[142:143]
	s_delay_alu instid0(VALU_DEP_2) | instskip(SKIP_1) | instid1(VALU_DEP_3)
	v_add_f64 v[136:137], v[210:211], v[136:137]
	v_mul_f64 v[210:211], v[196:197], s[20:21]
	v_add_f64 v[128:129], v[134:135], v[128:129]
	s_delay_alu instid0(VALU_DEP_2) | instskip(SKIP_1) | instid1(VALU_DEP_2)
	v_fma_f64 v[226:227], v[8:9], s[26:27], v[210:211]
	v_fma_f64 v[134:135], v[8:9], s[26:27], -v[210:211]
	v_add_f64 v[52:53], v[226:227], v[52:53]
	v_fma_f64 v[226:227], v[10:11], s[34:35], v[232:233]
	s_delay_alu instid0(VALU_DEP_3) | instskip(SKIP_1) | instid1(VALU_DEP_3)
	v_add_f64 v[48:49], v[134:135], v[48:49]
	v_fma_f64 v[134:135], v[10:11], s[20:21], v[232:233]
	v_add_f64 v[136:137], v[226:227], v[136:137]
	v_fma_f64 v[226:227], v[4:5], s[12:13], v[234:235]
	s_delay_alu instid0(VALU_DEP_3) | instskip(SKIP_1) | instid1(VALU_DEP_3)
	v_add_f64 v[128:129], v[134:135], v[128:129]
	v_fma_f64 v[134:135], v[4:5], s[12:13], -v[234:235]
	v_add_f64 v[52:53], v[226:227], v[52:53]
	v_fma_f64 v[226:227], v[6:7], s[8:9], v[236:237]
	s_delay_alu instid0(VALU_DEP_3) | instskip(SKIP_1) | instid1(VALU_DEP_3)
	v_add_f64 v[48:49], v[134:135], v[48:49]
	v_fma_f64 v[134:135], v[6:7], s[44:45], v[236:237]
	v_add_f64 v[136:137], v[226:227], v[136:137]
	v_fma_f64 v[226:227], v[0:1], s[24:25], v[238:239]
	s_delay_alu instid0(VALU_DEP_3) | instskip(SKIP_2) | instid1(VALU_DEP_4)
	v_add_f64 v[128:129], v[134:135], v[128:129]
	v_fma_f64 v[134:135], v[0:1], s[24:25], -v[238:239]
	v_mul_f64 v[238:239], v[204:205], s[14:15]
	v_add_f64 v[226:227], v[226:227], v[52:53]
	v_mul_f64 v[52:53], v[212:213], s[24:25]
	s_delay_alu instid0(VALU_DEP_4) | instskip(SKIP_2) | instid1(VALU_DEP_4)
	v_add_f64 v[230:231], v[134:135], v[48:49]
	v_mul_f64 v[48:49], v[208:209], s[34:35]
	v_mul_f64 v[134:135], v[202:203], s[18:19]
	v_fma_f64 v[228:229], v[2:3], s[18:19], v[52:53]
	v_fma_f64 v[52:53], v[2:3], s[42:43], v[52:53]
	s_delay_alu instid0(VALU_DEP_2) | instskip(NEXT) | instid1(VALU_DEP_2)
	v_add_f64 v[228:229], v[228:229], v[136:137]
	v_add_f64 v[232:233], v[52:53], v[128:129]
	v_fma_f64 v[52:53], v[16:17], s[26:27], v[48:49]
	v_fma_f64 v[136:137], v[12:13], s[24:25], v[134:135]
	v_fma_f64 v[48:49], v[16:17], s[26:27], -v[48:49]
	s_delay_alu instid0(VALU_DEP_3) | instskip(SKIP_1) | instid1(VALU_DEP_3)
	v_add_f64 v[52:53], v[52:53], v[54:55]
	v_mul_f64 v[54:55], v[206:207], s[26:27]
	v_add_f64 v[46:47], v[48:49], v[46:47]
	s_delay_alu instid0(VALU_DEP_3) | instskip(NEXT) | instid1(VALU_DEP_3)
	v_add_f64 v[52:53], v[136:137], v[52:53]
	v_fma_f64 v[128:129], v[18:19], s[20:21], v[54:55]
	v_mul_f64 v[136:137], v[198:199], s[24:25]
	v_fma_f64 v[48:49], v[18:19], s[34:35], v[54:55]
	s_delay_alu instid0(VALU_DEP_3) | instskip(NEXT) | instid1(VALU_DEP_3)
	v_add_f64 v[128:129], v[128:129], v[140:141]
	v_fma_f64 v[138:139], v[14:15], s[42:43], v[136:137]
	s_delay_alu instid0(VALU_DEP_3) | instskip(SKIP_1) | instid1(VALU_DEP_3)
	v_add_f64 v[44:45], v[48:49], v[44:45]
	v_fma_f64 v[48:49], v[12:13], s[24:25], -v[134:135]
	v_add_f64 v[128:129], v[138:139], v[128:129]
	v_mul_f64 v[138:139], v[196:197], s[44:45]
	s_delay_alu instid0(VALU_DEP_3) | instskip(SKIP_1) | instid1(VALU_DEP_3)
	v_add_f64 v[46:47], v[48:49], v[46:47]
	v_fma_f64 v[48:49], v[14:15], s[18:19], v[136:137]
	v_fma_f64 v[140:141], v[8:9], s[12:13], v[138:139]
	s_delay_alu instid0(VALU_DEP_2) | instskip(SKIP_1) | instid1(VALU_DEP_3)
	v_add_f64 v[44:45], v[48:49], v[44:45]
	v_fma_f64 v[48:49], v[8:9], s[12:13], -v[138:139]
	v_add_f64 v[52:53], v[140:141], v[52:53]
	v_mul_f64 v[140:141], v[200:201], s[12:13]
	s_delay_alu instid0(VALU_DEP_3) | instskip(NEXT) | instid1(VALU_DEP_2)
	v_add_f64 v[46:47], v[48:49], v[46:47]
	v_fma_f64 v[142:143], v[10:11], s[8:9], v[140:141]
	v_fma_f64 v[48:49], v[10:11], s[44:45], v[140:141]
	v_mul_f64 v[140:141], v[204:205], s[34:35]
	s_delay_alu instid0(VALU_DEP_3) | instskip(SKIP_1) | instid1(VALU_DEP_4)
	v_add_f64 v[128:129], v[142:143], v[128:129]
	v_mul_f64 v[142:143], v[38:39], s[36:37]
	v_add_f64 v[44:45], v[48:49], v[44:45]
	s_delay_alu instid0(VALU_DEP_2) | instskip(SKIP_2) | instid1(VALU_DEP_3)
	v_fma_f64 v[210:211], v[4:5], s[28:29], v[142:143]
	v_fma_f64 v[48:49], v[4:5], s[28:29], -v[142:143]
	v_mul_f64 v[142:143], v[212:213], s[26:27]
	v_add_f64 v[52:53], v[210:211], v[52:53]
	v_mul_f64 v[210:211], v[36:37], s[28:29]
	s_delay_alu instid0(VALU_DEP_4) | instskip(NEXT) | instid1(VALU_DEP_2)
	v_add_f64 v[46:47], v[48:49], v[46:47]
	v_fma_f64 v[234:235], v[6:7], s[30:31], v[210:211]
	v_fma_f64 v[48:49], v[6:7], s[36:37], v[210:211]
	s_delay_alu instid0(VALU_DEP_2) | instskip(SKIP_1) | instid1(VALU_DEP_3)
	v_add_f64 v[128:129], v[234:235], v[128:129]
	v_fma_f64 v[234:235], v[0:1], s[22:23], v[238:239]
	v_add_f64 v[48:49], v[48:49], v[44:45]
	v_fma_f64 v[44:45], v[0:1], s[22:23], -v[238:239]
	s_delay_alu instid0(VALU_DEP_3) | instskip(SKIP_1) | instid1(VALU_DEP_3)
	v_add_f64 v[234:235], v[234:235], v[52:53]
	v_mul_f64 v[52:53], v[212:213], s[22:23]
	v_add_f64 v[44:45], v[44:45], v[46:47]
	s_delay_alu instid0(VALU_DEP_2) | instskip(SKIP_1) | instid1(VALU_DEP_2)
	v_fma_f64 v[236:237], v[2:3], s[40:41], v[52:53]
	v_fma_f64 v[52:53], v[2:3], s[14:15], v[52:53]
	v_add_f64 v[236:237], v[236:237], v[128:129]
	s_delay_alu instid0(VALU_DEP_2) | instskip(SKIP_1) | instid1(VALU_DEP_1)
	v_add_f64 v[46:47], v[52:53], v[48:49]
	v_mul_f64 v[48:49], v[208:209], s[36:37]
	v_fma_f64 v[52:53], v[16:17], s[28:29], v[48:49]
	s_delay_alu instid0(VALU_DEP_1) | instskip(SKIP_1) | instid1(VALU_DEP_1)
	v_add_f64 v[42:43], v[52:53], v[42:43]
	v_mul_f64 v[52:53], v[206:207], s[28:29]
	v_fma_f64 v[54:55], v[18:19], s[30:31], v[52:53]
	s_delay_alu instid0(VALU_DEP_1) | instskip(SKIP_1) | instid1(VALU_DEP_1)
	;; [unrolled: 4-line block ×7, first 2 shown]
	v_add_f64 v[38:39], v[38:39], v[42:43]
	v_mul_f64 v[42:43], v[36:37], s[22:23]
	v_fma_f64 v[36:37], v[6:7], s[40:41], v[42:43]
	v_fma_f64 v[42:43], v[6:7], s[14:15], v[42:43]
	;; [unrolled: 1-line block ×3, first 2 shown]
	s_delay_alu instid0(VALU_DEP_3) | instskip(SKIP_1) | instid1(VALU_DEP_1)
	v_add_f64 v[40:41], v[36:37], v[40:41]
	v_fma_f64 v[36:37], v[0:1], s[26:27], v[140:141]
	v_add_f64 v[36:37], v[36:37], v[38:39]
	v_fma_f64 v[38:39], v[2:3], s[20:21], v[142:143]
	s_delay_alu instid0(VALU_DEP_1)
	v_add_f64 v[38:39], v[38:39], v[40:41]
	v_fma_f64 v[40:41], v[16:17], s[28:29], -v[48:49]
	v_fma_f64 v[48:49], v[18:19], s[36:37], v[52:53]
	v_fma_f64 v[52:53], v[12:13], s[16:17], -v[54:55]
	v_fma_f64 v[16:17], v[16:17], s[24:25], -v[24:25]
	v_fma_f64 v[18:19], v[18:19], s[18:19], v[26:27]
	v_fma_f64 v[12:13], v[12:13], s[26:27], -v[28:29]
	v_add_f64 v[40:41], v[40:41], v[194:195]
	v_add_f64 v[48:49], v[48:49], v[192:193]
	;; [unrolled: 1-line block ×4, first 2 shown]
	s_delay_alu instid0(VALU_DEP_4) | instskip(SKIP_3) | instid1(VALU_DEP_3)
	v_add_f64 v[40:41], v[52:53], v[40:41]
	v_fma_f64 v[52:53], v[14:15], s[10:11], v[128:129]
	v_fma_f64 v[14:15], v[14:15], s[20:21], v[30:31]
	v_add_f64 v[12:13], v[12:13], v[16:17]
	v_add_f64 v[48:49], v[52:53], v[48:49]
	v_fma_f64 v[52:53], v[8:9], s[24:25], -v[134:135]
	v_fma_f64 v[8:9], v[8:9], s[22:23], -v[32:33]
	v_add_f64 v[14:15], v[14:15], v[18:19]
	s_delay_alu instid0(VALU_DEP_3) | instskip(SKIP_3) | instid1(VALU_DEP_3)
	v_add_f64 v[40:41], v[52:53], v[40:41]
	v_fma_f64 v[52:53], v[10:11], s[42:43], v[136:137]
	v_fma_f64 v[10:11], v[10:11], s[14:15], v[34:35]
	v_add_f64 v[8:9], v[8:9], v[12:13]
	v_add_f64 v[48:49], v[52:53], v[48:49]
	v_fma_f64 v[52:53], v[4:5], s[22:23], -v[138:139]
	v_fma_f64 v[4:5], v[4:5], s[16:17], -v[180:181]
	v_add_f64 v[10:11], v[10:11], v[14:15]
	s_delay_alu instid0(VALU_DEP_4) | instskip(NEXT) | instid1(VALU_DEP_4)
	v_add_f64 v[42:43], v[42:43], v[48:49]
	v_add_f64 v[40:41], v[52:53], v[40:41]
	v_fma_f64 v[48:49], v[0:1], s[26:27], -v[140:141]
	v_fma_f64 v[52:53], v[2:3], s[34:35], v[142:143]
	v_fma_f64 v[0:1], v[0:1], s[12:13], -v[130:131]
	v_fma_f64 v[2:3], v[2:3], s[8:9], v[132:133]
	v_add_f64 v[4:5], v[4:5], v[8:9]
	v_add_f64 v[6:7], v[6:7], v[10:11]
	;; [unrolled: 1-line block ×4, first 2 shown]
	s_delay_alu instid0(VALU_DEP_4) | instskip(NEXT) | instid1(VALU_DEP_4)
	v_add_f64 v[180:181], v[0:1], v[4:5]
	v_add_f64 v[182:183], v[2:3], v[6:7]
	ds_store_b128 v255, v[124:127] offset:32
	ds_store_b128 v255, v[218:221] offset:48
	;; [unrolled: 1-line block ×11, first 2 shown]
	ds_store_b128 v255, v[184:187]
	ds_store_b128 v255, v[180:183] offset:192
	s_waitcnt lgkmcnt(0)
	s_barrier
	buffer_gl0_inv
	ds_load_b128 v[184:187], v51
	ds_load_b128 v[188:191], v51 offset:1248
	ds_load_b128 v[196:199], v51 offset:2704
	;; [unrolled: 1-line block ×11, first 2 shown]
	s_and_saveexec_b32 s0, vcc_lo
	s_cbranch_execz .LBB0_7
; %bb.6:
	ds_load_b128 v[180:183], v51 offset:2496
	ds_load_b128 v[0:3], v51 offset:5200
	s_waitcnt lgkmcnt(0)
	scratch_store_b128 off, v[0:3], off offset:4 ; 16-byte Folded Spill
	ds_load_b128 v[0:3], v51 offset:7904
	s_waitcnt lgkmcnt(0)
	scratch_store_b128 off, v[0:3], off offset:36 ; 16-byte Folded Spill
	;; [unrolled: 3-line block ×5, first 2 shown]
.LBB0_7:
	s_or_b32 exec_lo, exec_lo, s0
	s_waitcnt lgkmcnt(5)
	v_mul_f64 v[0:1], v[118:119], v[224:225]
	s_waitcnt lgkmcnt(1)
	v_mul_f64 v[2:3], v[122:123], v[228:229]
	v_mul_f64 v[4:5], v[106:107], v[216:217]
	s_waitcnt lgkmcnt(0)
	v_mul_f64 v[6:7], v[110:111], v[220:221]
	v_mul_f64 v[8:9], v[90:91], v[196:197]
	;; [unrolled: 1-line block ×17, first 2 shown]
	s_mov_b32 s0, 0xe8584caa
	s_mov_b32 s1, 0xbfebb67a
	;; [unrolled: 1-line block ×4, first 2 shown]
	s_waitcnt_vscnt null, 0x0
	s_barrier
	buffer_gl0_inv
	v_fma_f64 v[0:1], v[116:117], v[226:227], -v[0:1]
	v_fma_f64 v[2:3], v[120:121], v[230:231], -v[2:3]
	;; [unrolled: 1-line block ×5, first 2 shown]
	v_fma_f64 v[10:11], v[116:117], v[224:225], v[10:11]
	v_fma_f64 v[12:13], v[120:121], v[228:229], v[12:13]
	v_fma_f64 v[14:15], v[80:81], v[194:195], -v[14:15]
	v_fma_f64 v[16:17], v[104:105], v[216:217], v[16:17]
	v_fma_f64 v[18:19], v[108:109], v[220:221], v[18:19]
	v_fma_f64 v[20:21], v[88:89], v[196:197], v[20:21]
	v_fma_f64 v[22:23], v[100:101], v[208:209], v[22:23]
	v_fma_f64 v[24:25], v[100:101], v[210:211], -v[24:25]
	v_fma_f64 v[26:27], v[96:97], v[212:213], v[26:27]
	v_fma_f64 v[28:29], v[96:97], v[214:215], -v[28:29]
	v_fma_f64 v[30:31], v[80:81], v[192:193], v[30:31]
	v_fma_f64 v[34:35], v[92:93], v[200:201], v[34:35]
	v_fma_f64 v[36:37], v[92:93], v[202:203], -v[36:37]
	v_fma_f64 v[38:39], v[84:85], v[204:205], v[38:39]
	v_fma_f64 v[40:41], v[84:85], v[206:207], -v[40:41]
	v_add_f64 v[32:33], v[0:1], v[2:3]
	v_add_f64 v[82:83], v[0:1], -v[2:3]
	v_add_f64 v[42:43], v[4:5], v[6:7]
	v_add_f64 v[88:89], v[4:5], -v[6:7]
	v_add_f64 v[0:1], v[8:9], v[0:1]
	v_add_f64 v[44:45], v[10:11], v[12:13]
	v_add_f64 v[46:47], v[10:11], -v[12:13]
	v_add_f64 v[4:5], v[14:15], v[4:5]
	;; [unrolled: 3-line block ×3, first 2 shown]
	v_add_f64 v[54:55], v[22:23], v[26:27]
	v_add_f64 v[80:81], v[24:25], v[28:29]
	v_add_f64 v[92:93], v[24:25], -v[28:29]
	v_add_f64 v[24:25], v[186:187], v[24:25]
	v_add_f64 v[16:17], v[30:31], v[16:17]
	;; [unrolled: 1-line block ×3, first 2 shown]
	v_fma_f64 v[32:33], v[32:33], -0.5, v[8:9]
	v_add_f64 v[8:9], v[188:189], v[34:35]
	v_fma_f64 v[42:43], v[42:43], -0.5, v[14:15]
	v_fma_f64 v[44:45], v[44:45], -0.5, v[20:21]
	v_add_f64 v[20:21], v[36:37], -v[40:41]
	v_add_f64 v[36:37], v[190:191], v[36:37]
	v_fma_f64 v[48:49], v[48:49], -0.5, v[30:31]
	v_add_f64 v[10:11], v[10:11], v[12:13]
	v_add_f64 v[12:13], v[0:1], v[2:3]
	v_fma_f64 v[14:15], v[54:55], -0.5, v[184:185]
	v_fma_f64 v[30:31], v[80:81], -0.5, v[186:187]
	v_add_f64 v[24:25], v[24:25], v[28:29]
	v_add_f64 v[16:17], v[16:17], v[18:19]
	v_add_f64 v[18:19], v[4:5], v[6:7]
	v_fma_f64 v[86:87], v[86:87], -0.5, v[190:191]
	v_fma_f64 v[84:85], v[46:47], s[8:9], v[32:33]
	v_fma_f64 v[32:33], v[46:47], s[0:1], v[32:33]
	v_add_f64 v[46:47], v[34:35], v[38:39]
	v_fma_f64 v[90:91], v[52:53], s[8:9], v[42:43]
	v_fma_f64 v[42:43], v[52:53], s[0:1], v[42:43]
	v_add_f64 v[52:53], v[184:185], v[22:23]
	v_add_f64 v[22:23], v[22:23], -v[26:27]
	v_fma_f64 v[54:55], v[82:83], s[0:1], v[44:45]
	v_fma_f64 v[44:45], v[82:83], s[8:9], v[44:45]
	v_add_f64 v[34:35], v[34:35], -v[38:39]
	v_fma_f64 v[94:95], v[88:89], s[0:1], v[48:49]
	v_fma_f64 v[48:49], v[88:89], s[8:9], v[48:49]
	v_add_f64 v[28:29], v[8:9], v[38:39]
	v_add_f64 v[36:37], v[36:37], v[40:41]
	v_fma_f64 v[38:39], v[92:93], s[0:1], v[14:15]
	v_fma_f64 v[40:41], v[92:93], s[8:9], v[14:15]
	v_add_f64 v[2:3], v[24:25], v[12:13]
	v_add_f64 v[6:7], v[24:25], -v[12:13]
	v_mul_f64 v[80:81], v[84:85], s[0:1]
	v_mul_f64 v[84:85], v[84:85], 0.5
	v_mul_f64 v[82:83], v[32:33], s[0:1]
	v_mul_f64 v[32:33], v[32:33], -0.5
	v_fma_f64 v[46:47], v[46:47], -0.5, v[188:189]
	v_mul_f64 v[88:89], v[90:91], s[0:1]
	v_mul_f64 v[90:91], v[90:91], 0.5
	v_mul_f64 v[96:97], v[42:43], s[0:1]
	v_mul_f64 v[42:43], v[42:43], -0.5
	v_add_f64 v[26:27], v[52:53], v[26:27]
	v_fma_f64 v[52:53], v[22:23], s[8:9], v[30:31]
	v_fma_f64 v[30:31], v[22:23], s[0:1], v[30:31]
	v_add_f64 v[8:9], v[28:29], v[16:17]
	v_add_f64 v[12:13], v[28:29], -v[16:17]
	v_add_f64 v[14:15], v[36:37], -v[18:19]
	v_fma_f64 v[80:81], v[54:55], 0.5, v[80:81]
	v_fma_f64 v[54:55], v[54:55], s[8:9], v[84:85]
	v_fma_f64 v[82:83], v[44:45], -0.5, v[82:83]
	v_fma_f64 v[32:33], v[44:45], s[8:9], v[32:33]
	v_fma_f64 v[44:45], v[20:21], s[0:1], v[46:47]
	;; [unrolled: 1-line block ×3, first 2 shown]
	v_fma_f64 v[88:89], v[94:95], 0.5, v[88:89]
	v_fma_f64 v[90:91], v[94:95], s[8:9], v[90:91]
	v_fma_f64 v[46:47], v[20:21], s[8:9], v[46:47]
	;; [unrolled: 1-line block ×3, first 2 shown]
	v_fma_f64 v[92:93], v[48:49], -0.5, v[96:97]
	v_fma_f64 v[48:49], v[48:49], s[8:9], v[42:43]
	v_add_f64 v[0:1], v[26:27], v[10:11]
	v_add_f64 v[4:5], v[26:27], -v[10:11]
	v_add_f64 v[10:11], v[36:37], v[18:19]
	v_add_f64 v[16:17], v[38:39], v[80:81]
	;; [unrolled: 1-line block ×5, first 2 shown]
	v_add_f64 v[24:25], v[38:39], -v[80:81]
	v_add_f64 v[26:27], v[52:53], -v[54:55]
	;; [unrolled: 1-line block ×4, first 2 shown]
	v_add_f64 v[32:33], v[44:45], v[88:89]
	v_add_f64 v[34:35], v[84:85], v[90:91]
	;; [unrolled: 1-line block ×4, first 2 shown]
	v_add_f64 v[40:41], v[44:45], -v[88:89]
	v_add_f64 v[42:43], v[84:85], -v[90:91]
	;; [unrolled: 1-line block ×4, first 2 shown]
	ds_store_b128 v252, v[0:3]
	ds_store_b128 v252, v[16:19] offset:208
	ds_store_b128 v252, v[20:23] offset:416
	;; [unrolled: 1-line block ×5, first 2 shown]
	ds_store_b128 v251, v[8:11]
	ds_store_b128 v251, v[32:35] offset:208
	ds_store_b128 v251, v[36:39] offset:416
	;; [unrolled: 1-line block ×5, first 2 shown]
	s_and_saveexec_b32 s10, vcc_lo
	s_cbranch_execz .LBB0_9
; %bb.8:
	s_clause 0x3
	scratch_load_b128 v[20:23], off, off offset:372
	scratch_load_b128 v[26:29], off, off offset:20
	;; [unrolled: 1-line block ×4, first 2 shown]
	s_waitcnt vmcnt(2)
	v_mul_f64 v[0:1], v[22:23], v[26:27]
	v_mul_f64 v[4:5], v[22:23], v[28:29]
	scratch_load_b128 v[22:25], off, off offset:4 ; 16-byte Folded Reload
	s_waitcnt vmcnt(2)
	v_mul_f64 v[2:3], v[62:63], v[36:37]
	v_mul_f64 v[6:7], v[62:63], v[38:39]
	s_waitcnt vmcnt(1)
	v_mul_f64 v[12:13], v[66:67], v[32:33]
	v_mul_f64 v[16:17], v[66:67], v[34:35]
	v_fma_f64 v[0:1], v[20:21], v[28:29], -v[0:1]
	scratch_load_b128 v[28:31], off, off offset:36 ; 16-byte Folded Reload
	v_fma_f64 v[4:5], v[20:21], v[26:27], v[4:5]
	v_fma_f64 v[2:3], v[60:61], v[38:39], -v[2:3]
	v_fma_f64 v[6:7], v[60:61], v[36:37], v[6:7]
	v_fma_f64 v[12:13], v[64:65], v[34:35], -v[12:13]
	v_fma_f64 v[16:17], v[64:65], v[32:33], v[16:17]
	s_delay_alu instid0(VALU_DEP_4)
	v_add_f64 v[20:21], v[0:1], v[2:3]
	s_waitcnt vmcnt(1)
	v_mul_f64 v[8:9], v[58:59], v[22:23]
	v_mul_f64 v[18:19], v[58:59], v[24:25]
	s_waitcnt vmcnt(0)
	v_mul_f64 v[10:11], v[70:71], v[28:29]
	s_delay_alu instid0(VALU_DEP_3) | instskip(SKIP_1) | instid1(VALU_DEP_4)
	v_fma_f64 v[8:9], v[56:57], v[24:25], -v[8:9]
	v_mul_f64 v[14:15], v[70:71], v[30:31]
	v_fma_f64 v[18:19], v[56:57], v[22:23], v[18:19]
	v_add_f64 v[22:23], v[4:5], v[6:7]
	v_add_f64 v[24:25], v[4:5], -v[6:7]
	v_fma_f64 v[10:11], v[68:69], v[30:31], -v[10:11]
	v_fma_f64 v[20:21], v[20:21], -0.5, v[8:9]
	v_fma_f64 v[14:15], v[68:69], v[28:29], v[14:15]
	v_add_f64 v[28:29], v[0:1], -v[2:3]
	v_fma_f64 v[22:23], v[22:23], -0.5, v[18:19]
	v_add_f64 v[0:1], v[8:9], v[0:1]
	v_add_f64 v[4:5], v[18:19], v[4:5]
	;; [unrolled: 1-line block ×3, first 2 shown]
	v_fma_f64 v[32:33], v[24:25], s[0:1], v[20:21]
	v_fma_f64 v[20:21], v[24:25], s[8:9], v[20:21]
	v_add_f64 v[30:31], v[14:15], v[16:17]
	v_add_f64 v[24:25], v[14:15], -v[16:17]
	v_add_f64 v[34:35], v[182:183], v[10:11]
	v_add_f64 v[8:9], v[10:11], -v[12:13]
	v_add_f64 v[10:11], v[180:181], v[14:15]
	v_add_f64 v[4:5], v[4:5], v[6:7]
	v_fma_f64 v[14:15], v[26:27], -0.5, v[182:183]
	v_fma_f64 v[26:27], v[28:29], s[8:9], v[22:23]
	v_fma_f64 v[22:23], v[28:29], s[0:1], v[22:23]
	v_mul_f64 v[28:29], v[20:21], 0.5
	v_fma_f64 v[18:19], v[30:31], -0.5, v[180:181]
	v_mul_f64 v[20:21], v[20:21], s[0:1]
	v_mul_f64 v[30:31], v[32:33], -0.5
	v_add_f64 v[10:11], v[10:11], v[16:17]
	v_mul_f64 v[32:33], v[32:33], s[0:1]
	v_add_f64 v[12:13], v[34:35], v[12:13]
	v_add_f64 v[34:35], v[0:1], v[2:3]
	v_fma_f64 v[16:17], v[24:25], s[0:1], v[14:15]
	v_fma_f64 v[24:25], v[24:25], s[8:9], v[14:15]
	v_fma_f64 v[28:29], v[22:23], s[8:9], v[28:29]
	v_fma_f64 v[36:37], v[8:9], s[8:9], v[18:19]
	v_fma_f64 v[8:9], v[8:9], s[0:1], v[18:19]
	v_fma_f64 v[20:21], v[22:23], 0.5, v[20:21]
	v_fma_f64 v[14:15], v[26:27], s[8:9], v[30:31]
	v_fma_f64 v[26:27], v[26:27], -0.5, v[32:33]
	v_add_f64 v[0:1], v[10:11], -v[4:5]
	v_add_f64 v[6:7], v[12:13], v[34:35]
	v_add_f64 v[4:5], v[10:11], v[4:5]
	v_add_f64 v[2:3], v[12:13], -v[34:35]
	v_add_f64 v[18:19], v[24:25], v[28:29]
	v_add_f64 v[22:23], v[24:25], -v[28:29]
	s_clause 0x1
	scratch_load_b32 v24, off, off
	scratch_load_b32 v25, off, off offset:304
	v_add_f64 v[10:11], v[16:17], -v[14:15]
	v_add_f64 v[14:15], v[16:17], v[14:15]
	v_add_f64 v[16:17], v[8:9], v[20:21]
	;; [unrolled: 1-line block ×3, first 2 shown]
	v_add_f64 v[20:21], v[8:9], -v[20:21]
	v_add_f64 v[8:9], v[36:37], -v[26:27]
	s_waitcnt vmcnt(0)
	v_lshl_add_u32 v24, v25, 4, v24
	ds_store_b128 v24, v[4:7] offset:14976
	ds_store_b128 v24, v[16:19] offset:15184
	;; [unrolled: 1-line block ×6, first 2 shown]
.LBB0_9:
	s_or_b32 exec_lo, exec_lo, s10
	s_waitcnt lgkmcnt(0)
	s_barrier
	buffer_gl0_inv
	ds_load_b128 v[0:3], v51 offset:1248
	ds_load_b128 v[6:9], v51 offset:14976
	;; [unrolled: 1-line block ×4, first 2 shown]
	ds_load_b128 v[52:55], v51
	ds_load_b128 v[18:21], v51 offset:3744
	ds_load_b128 v[22:25], v51 offset:12480
	;; [unrolled: 1-line block ×8, first 2 shown]
	s_mov_b32 s10, 0x4267c47c
	s_mov_b32 s12, 0xe00740e9
	;; [unrolled: 1-line block ×13, first 2 shown]
	s_waitcnt lgkmcnt(12)
	v_mul_f64 v[4:5], v[114:115], v[2:3]
	v_mul_f64 v[56:57], v[114:115], v[0:1]
	s_waitcnt lgkmcnt(11)
	v_mul_f64 v[58:59], v[178:179], v[6:7]
	s_waitcnt lgkmcnt(10)
	v_mul_f64 v[60:61], v[74:75], v[10:11]
	v_mul_f64 v[64:65], v[74:75], v[12:13]
	s_waitcnt lgkmcnt(6)
	v_mul_f64 v[68:69], v[170:171], v[22:23]
	v_mul_f64 v[74:75], v[178:179], v[8:9]
	;; [unrolled: 1-line block ×3, first 2 shown]
	s_waitcnt lgkmcnt(5)
	v_mul_f64 v[82:83], v[162:163], v[26:27]
	v_mul_f64 v[84:85], v[170:171], v[24:25]
	s_waitcnt lgkmcnt(2)
	v_mul_f64 v[86:87], v[166:167], v[40:41]
	v_mul_f64 v[62:63], v[174:175], v[14:15]
	;; [unrolled: 1-line block ×8, first 2 shown]
	s_waitcnt lgkmcnt(1)
	v_mul_f64 v[92:93], v[146:147], v[42:43]
	s_waitcnt lgkmcnt(0)
	v_mul_f64 v[94:95], v[158:159], v[48:49]
	v_mul_f64 v[96:97], v[158:159], v[46:47]
	s_mov_b32 s27, 0xbfedeba7
	s_mov_b32 s29, 0xbfd6b1d8
	;; [unrolled: 1-line block ×17, first 2 shown]
	v_fma_f64 v[90:91], v[112:113], v[0:1], v[4:5]
	v_fma_f64 v[56:57], v[112:113], v[2:3], -v[56:57]
	v_fma_f64 v[0:1], v[176:177], v[8:9], -v[58:59]
	;; [unrolled: 1-line block ×3, first 2 shown]
	v_mul_f64 v[60:61], v[150:151], v[30:31]
	v_fma_f64 v[8:9], v[168:169], v[24:25], -v[68:69]
	v_fma_f64 v[24:25], v[72:73], v[10:11], v[64:65]
	v_fma_f64 v[2:3], v[176:177], v[6:7], v[74:75]
	;; [unrolled: 1-line block ×4, first 2 shown]
	v_fma_f64 v[22:23], v[160:161], v[28:29], -v[82:83]
	v_fma_f64 v[14:15], v[164:165], v[38:39], v[86:87]
	v_fma_f64 v[4:5], v[172:173], v[16:17], -v[62:63]
	v_mul_f64 v[16:17], v[150:151], v[32:33]
	v_fma_f64 v[20:21], v[76:77], v[20:21], -v[66:67]
	v_fma_f64 v[64:65], v[76:77], v[18:19], v[70:71]
	v_fma_f64 v[18:19], v[152:153], v[34:35], v[98:99]
	v_mul_f64 v[62:63], v[146:147], v[44:45]
	v_fma_f64 v[26:27], v[160:161], v[26:27], v[78:79]
	v_fma_f64 v[12:13], v[164:165], v[40:41], -v[88:89]
	v_fma_f64 v[44:45], v[144:145], v[44:45], -v[92:93]
	v_fma_f64 v[46:47], v[156:157], v[46:47], v[94:95]
	v_fma_f64 v[48:49], v[156:157], v[48:49], -v[96:97]
	s_mov_b32 s38, s24
	s_mov_b32 s23, 0x3fefc445
	s_mov_b32 s35, 0x3fcea1e5
	s_mov_b32 s22, s18
	s_mov_b32 s34, s40
	v_add_f64 v[28:29], v[52:53], v[90:91]
	v_add_f64 v[38:39], v[54:55], v[56:57]
	v_add_f64 v[40:41], v[56:57], -v[0:1]
	v_add_f64 v[56:57], v[56:57], v[0:1]
	v_fma_f64 v[32:33], v[148:149], v[32:33], -v[60:61]
	v_add_f64 v[60:61], v[90:91], v[2:3]
	v_add_f64 v[70:71], v[24:25], v[6:7]
	v_add_f64 v[72:73], v[24:25], -v[6:7]
	v_add_f64 v[66:67], v[58:59], -v[4:5]
	v_fma_f64 v[30:31], v[148:149], v[30:31], v[16:17]
	v_fma_f64 v[16:17], v[152:153], v[36:37], -v[100:101]
	v_add_f64 v[34:35], v[20:21], -v[8:9]
	v_add_f64 v[36:37], v[20:21], v[8:9]
	v_add_f64 v[68:69], v[58:59], v[4:5]
	v_fma_f64 v[42:43], v[144:145], v[42:43], v[62:63]
	v_add_f64 v[62:63], v[90:91], -v[2:3]
	v_add_f64 v[74:75], v[64:65], v[10:11]
	v_add_f64 v[76:77], v[64:65], -v[10:11]
	v_add_f64 v[80:81], v[22:23], v[12:13]
	;; [unrolled: 2-line block ×4, first 2 shown]
	v_add_f64 v[28:29], v[38:39], v[58:59]
	v_mul_f64 v[38:39], v[40:41], s[10:11]
	v_mul_f64 v[58:59], v[56:57], s[12:13]
	;; [unrolled: 1-line block ×36, first 2 shown]
	v_add_f64 v[24:25], v[24:25], v[64:65]
	v_add_f64 v[20:21], v[28:29], v[20:21]
	v_fma_f64 v[28:29], v[60:61], s[12:13], v[38:39]
	v_fma_f64 v[64:65], v[62:63], s[0:1], v[58:59]
	v_fma_f64 v[38:39], v[60:61], s[12:13], -v[38:39]
	v_fma_f64 v[58:59], v[62:63], s[10:11], v[58:59]
	v_fma_f64 v[162:163], v[60:61], s[14:15], v[86:87]
	;; [unrolled: 1-line block ×3, first 2 shown]
	v_fma_f64 v[86:87], v[60:61], s[14:15], -v[86:87]
	v_fma_f64 v[88:89], v[62:63], s[8:9], v[88:89]
	v_fma_f64 v[166:167], v[60:61], s[20:21], v[90:91]
	v_fma_f64 v[90:91], v[60:61], s[20:21], -v[90:91]
	v_fma_f64 v[170:171], v[60:61], s[28:29], v[94:95]
	v_fma_f64 v[172:173], v[62:63], s[30:31], v[96:97]
	v_fma_f64 v[94:95], v[60:61], s[28:29], -v[94:95]
	v_fma_f64 v[96:97], v[62:63], s[26:27], v[96:97]
	v_fma_f64 v[176:177], v[62:63], s[38:39], v[100:101]
	v_mul_f64 v[142:143], v[84:85], s[26:27]
	v_mul_f64 v[144:145], v[80:81], s[28:29]
	v_fma_f64 v[168:169], v[62:63], s[22:23], v[92:93]
	v_fma_f64 v[92:93], v[62:63], s[18:19], v[92:93]
	v_fma_f64 v[174:175], v[60:61], s[36:37], v[98:99]
	v_fma_f64 v[98:99], v[60:61], s[36:37], -v[98:99]
	v_fma_f64 v[100:101], v[62:63], s[24:25], v[100:101]
	v_fma_f64 v[178:179], v[60:61], s[42:43], v[40:41]
	v_fma_f64 v[180:181], v[62:63], s[34:35], v[56:57]
	v_fma_f64 v[40:41], v[60:61], s[42:43], -v[40:41]
	;; [unrolled: 4-line block ×4, first 2 shown]
	v_fma_f64 v[108:109], v[72:73], s[26:27], v[108:109]
	v_fma_f64 v[186:187], v[70:71], s[42:43], v[110:111]
	v_fma_f64 v[110:111], v[70:71], s[42:43], -v[110:111]
	v_add_f64 v[24:25], v[24:25], v[26:27]
	v_add_f64 v[20:21], v[20:21], v[22:23]
	v_fma_f64 v[190:191], v[70:71], s[36:37], v[114:115]
	v_fma_f64 v[192:193], v[72:73], s[24:25], v[116:117]
	v_fma_f64 v[114:115], v[70:71], s[36:37], -v[114:115]
	v_fma_f64 v[22:23], v[72:73], s[38:39], v[116:117]
	v_fma_f64 v[116:117], v[72:73], s[18:19], v[120:121]
	v_add_f64 v[28:29], v[52:53], v[28:29]
	v_add_f64 v[64:65], v[54:55], v[64:65]
	v_add_f64 v[38:39], v[52:53], v[38:39]
	v_add_f64 v[58:59], v[54:55], v[58:59]
	v_add_f64 v[162:163], v[52:53], v[162:163]
	v_add_f64 v[164:165], v[54:55], v[164:165]
	v_add_f64 v[86:87], v[52:53], v[86:87]
	v_add_f64 v[88:89], v[54:55], v[88:89]
	v_add_f64 v[90:91], v[52:53], v[90:91]
	v_add_f64 v[170:171], v[52:53], v[170:171]
	v_add_f64 v[94:95], v[52:53], v[94:95]
	v_add_f64 v[96:97], v[54:55], v[96:97]
	v_add_f64 v[176:177], v[54:55], v[176:177]
	v_mul_f64 v[146:147], v[84:85], s[38:39]
	v_mul_f64 v[148:149], v[80:81], s[36:37]
	;; [unrolled: 1-line block ×10, first 2 shown]
	v_fma_f64 v[188:189], v[72:73], s[34:35], v[112:113]
	v_fma_f64 v[112:113], v[72:73], s[40:41], v[112:113]
	;; [unrolled: 1-line block ×3, first 2 shown]
	v_fma_f64 v[118:119], v[70:71], s[20:21], -v[118:119]
	v_fma_f64 v[120:121], v[72:73], s[22:23], v[120:121]
	v_fma_f64 v[194:195], v[70:71], s[12:13], v[66:67]
	;; [unrolled: 1-line block ×3, first 2 shown]
	v_fma_f64 v[66:67], v[70:71], s[12:13], -v[66:67]
	v_add_f64 v[24:25], v[24:25], v[30:31]
	v_add_f64 v[20:21], v[20:21], v[32:33]
	v_fma_f64 v[68:69], v[72:73], s[0:1], v[68:69]
	v_fma_f64 v[70:71], v[74:75], s[20:21], v[122:123]
	;; [unrolled: 1-line block ×3, first 2 shown]
	v_fma_f64 v[122:123], v[74:75], s[20:21], -v[122:123]
	v_fma_f64 v[124:125], v[76:77], s[18:19], v[124:125]
	v_add_f64 v[166:167], v[52:53], v[166:167]
	v_add_f64 v[168:169], v[54:55], v[168:169]
	;; [unrolled: 1-line block ×11, first 2 shown]
	v_fma_f64 v[54:55], v[74:75], s[42:43], v[126:127]
	v_fma_f64 v[56:57], v[76:77], s[34:35], v[128:129]
	v_fma_f64 v[126:127], v[74:75], s[42:43], -v[126:127]
	v_fma_f64 v[128:129], v[76:77], s[40:41], v[128:129]
	v_add_f64 v[28:29], v[60:61], v[28:29]
	v_fma_f64 v[60:61], v[74:75], s[28:29], v[130:131]
	v_add_f64 v[62:63], v[62:63], v[64:65]
	v_fma_f64 v[64:65], v[76:77], s[26:27], v[132:133]
	v_fma_f64 v[130:131], v[74:75], s[28:29], -v[130:131]
	v_fma_f64 v[132:133], v[76:77], s[30:31], v[132:133]
	v_add_f64 v[38:39], v[102:103], v[38:39]
	v_fma_f64 v[102:103], v[74:75], s[12:13], v[134:135]
	v_add_f64 v[58:59], v[104:105], v[58:59]
	;; [unrolled: 6-line block ×3, first 2 shown]
	v_fma_f64 v[184:185], v[76:77], s[16:17], v[140:141]
	v_add_f64 v[24:25], v[24:25], v[42:43]
	v_add_f64 v[20:21], v[20:21], v[44:45]
	v_fma_f64 v[138:139], v[74:75], s[14:15], -v[138:139]
	v_fma_f64 v[140:141], v[76:77], s[8:9], v[140:141]
	v_add_f64 v[86:87], v[106:107], v[86:87]
	v_fma_f64 v[106:107], v[74:75], s[36:37], v[34:35]
	v_add_f64 v[88:89], v[108:109], v[88:89]
	v_add_f64 v[90:91], v[110:111], v[90:91]
	;; [unrolled: 1-line block ×6, first 2 shown]
	v_fma_f64 v[114:115], v[76:77], s[38:39], v[36:37]
	v_fma_f64 v[34:35], v[74:75], s[36:37], -v[34:35]
	v_fma_f64 v[36:37], v[76:77], s[24:25], v[36:37]
	v_fma_f64 v[74:75], v[78:79], s[28:29], v[142:143]
	;; [unrolled: 1-line block ×3, first 2 shown]
	v_fma_f64 v[116:117], v[78:79], s[28:29], -v[142:143]
	v_fma_f64 v[142:143], v[82:83], s[26:27], v[144:145]
	v_add_f64 v[144:145], v[32:33], -v[16:17]
	v_add_f64 v[32:33], v[32:33], v[16:17]
	v_add_f64 v[108:109], v[186:187], v[166:167]
	;; [unrolled: 1-line block ×6, first 2 shown]
	v_fma_f64 v[168:169], v[78:79], s[36:37], v[146:147]
	v_fma_f64 v[170:171], v[82:83], s[24:25], v[148:149]
	v_fma_f64 v[146:147], v[78:79], s[36:37], -v[146:147]
	v_fma_f64 v[148:149], v[82:83], s[38:39], v[148:149]
	v_fma_f64 v[172:173], v[78:79], s[12:13], v[150:151]
	v_fma_f64 v[174:175], v[82:83], s[10:11], v[152:153]
	v_fma_f64 v[150:151], v[78:79], s[12:13], -v[150:151]
	v_fma_f64 v[152:153], v[82:83], s[0:1], v[152:153]
	;; [unrolled: 4-line block ×3, first 2 shown]
	v_add_f64 v[24:25], v[24:25], v[46:47]
	v_add_f64 v[20:21], v[20:21], v[48:49]
	v_fma_f64 v[188:189], v[78:79], s[42:43], v[158:159]
	v_fma_f64 v[190:191], v[82:83], s[40:41], v[160:161]
	v_fma_f64 v[158:159], v[78:79], s[42:43], -v[158:159]
	v_fma_f64 v[160:161], v[82:83], s[34:35], v[160:161]
	v_fma_f64 v[192:193], v[78:79], s[14:15], v[84:85]
	v_fma_f64 v[78:79], v[78:79], s[14:15], -v[84:85]
	v_fma_f64 v[84:85], v[82:83], s[8:9], v[80:81]
	v_fma_f64 v[80:81], v[82:83], s[16:17], v[80:81]
	v_add_f64 v[82:83], v[44:45], -v[48:49]
	v_add_f64 v[44:45], v[44:45], v[48:49]
	v_add_f64 v[98:99], v[118:119], v[98:99]
	v_add_f64 v[118:119], v[30:31], v[18:19]
	v_add_f64 v[30:31], v[30:31], -v[18:19]
	v_add_f64 v[100:101], v[120:121], v[100:101]
	v_add_f64 v[120:121], v[42:43], v[46:47]
	v_add_f64 v[42:43], v[42:43], -v[46:47]
	v_add_f64 v[178:179], v[194:195], v[178:179]
	v_mul_f64 v[46:47], v[144:145], s[24:25]
	v_mul_f64 v[48:49], v[32:33], s[36:37]
	;; [unrolled: 1-line block ×3, first 2 shown]
	v_add_f64 v[180:181], v[196:197], v[180:181]
	v_mul_f64 v[196:197], v[32:33], s[20:21]
	v_add_f64 v[40:41], v[66:67], v[40:41]
	v_add_f64 v[52:53], v[68:69], v[52:53]
	v_mul_f64 v[68:69], v[32:33], s[14:15]
	v_add_f64 v[28:29], v[70:71], v[28:29]
	v_mul_f64 v[70:71], v[144:145], s[34:35]
	;; [unrolled: 2-line block ×3, first 2 shown]
	v_add_f64 v[58:59], v[124:125], v[58:59]
	v_add_f64 v[54:55], v[54:55], v[162:163]
	v_mul_f64 v[162:163], v[32:33], s[12:13]
	v_mul_f64 v[32:33], v[32:33], s[28:29]
	v_add_f64 v[88:89], v[128:129], v[88:89]
	v_add_f64 v[102:103], v[102:103], v[110:111]
	v_mul_f64 v[66:67], v[144:145], s[8:9]
	v_add_f64 v[18:19], v[24:25], v[18:19]
	v_add_f64 v[16:17], v[20:21], v[16:17]
	v_mul_f64 v[124:125], v[144:145], s[0:1]
	v_mul_f64 v[144:145], v[144:145], s[26:27]
	v_add_f64 v[56:57], v[56:57], v[164:165]
	v_add_f64 v[86:87], v[126:127], v[86:87]
	v_add_f64 v[92:93], v[132:133], v[92:93]
	v_add_f64 v[104:105], v[104:105], v[112:113]
	v_add_f64 v[94:95], v[134:135], v[94:95]
	v_add_f64 v[22:23], v[136:137], v[22:23]
	v_mul_f64 v[164:165], v[82:83], s[40:41]
	v_mul_f64 v[128:129], v[82:83], s[0:1]
	;; [unrolled: 1-line block ×6, first 2 shown]
	v_add_f64 v[26:27], v[182:183], v[26:27]
	v_add_f64 v[98:99], v[138:139], v[98:99]
	;; [unrolled: 1-line block ×3, first 2 shown]
	v_fma_f64 v[112:113], v[118:119], s[36:37], v[46:47]
	v_fma_f64 v[134:135], v[30:31], s[38:39], v[48:49]
	v_fma_f64 v[46:47], v[118:119], s[36:37], -v[46:47]
	v_fma_f64 v[48:49], v[30:31], s[24:25], v[48:49]
	v_fma_f64 v[136:137], v[118:119], s[20:21], v[194:195]
	;; [unrolled: 1-line block ×7, first 2 shown]
	v_add_f64 v[106:107], v[106:107], v[178:179]
	v_fma_f64 v[178:179], v[30:31], s[40:41], v[122:123]
	v_fma_f64 v[122:123], v[30:31], s[34:35], v[122:123]
	v_add_f64 v[114:115], v[114:115], v[180:181]
	v_add_f64 v[34:35], v[34:35], v[40:41]
	v_fma_f64 v[40:41], v[30:31], s[10:11], v[162:163]
	v_fma_f64 v[162:163], v[30:31], s[0:1], v[162:163]
	v_add_f64 v[36:37], v[36:37], v[52:53]
	v_add_f64 v[28:29], v[74:75], v[28:29]
	;; [unrolled: 1-line block ×4, first 2 shown]
	v_fma_f64 v[18:19], v[30:31], s[30:31], v[32:33]
	v_fma_f64 v[16:17], v[30:31], s[26:27], v[32:33]
	v_add_f64 v[30:31], v[72:73], v[62:63]
	v_add_f64 v[38:39], v[116:117], v[38:39]
	;; [unrolled: 1-line block ×6, first 2 shown]
	v_fma_f64 v[194:195], v[118:119], s[20:21], -v[194:195]
	v_add_f64 v[96:97], v[184:185], v[96:97]
	v_fma_f64 v[184:185], v[118:119], s[14:15], v[66:67]
	v_fma_f64 v[66:67], v[118:119], s[14:15], -v[66:67]
	v_fma_f64 v[70:71], v[118:119], s[42:43], -v[70:71]
	v_fma_f64 v[180:181], v[118:119], s[12:13], v[124:125]
	v_fma_f64 v[124:125], v[118:119], s[12:13], -v[124:125]
	v_fma_f64 v[52:53], v[118:119], s[28:29], v[144:145]
	v_fma_f64 v[118:119], v[118:119], s[28:29], -v[144:145]
	v_fma_f64 v[62:63], v[120:121], s[42:43], -v[164:165]
	v_fma_f64 v[144:145], v[120:121], s[12:13], v[128:129]
	v_add_f64 v[56:57], v[170:171], v[56:57]
	v_add_f64 v[86:87], v[146:147], v[86:87]
	;; [unrolled: 1-line block ×3, first 2 shown]
	v_fma_f64 v[142:143], v[120:121], s[28:29], -v[24:25]
	v_fma_f64 v[146:147], v[42:43], s[26:27], v[20:21]
	v_add_f64 v[60:61], v[60:61], v[108:109]
	v_add_f64 v[64:65], v[64:65], v[166:167]
	v_add_f64 v[90:91], v[130:131], v[90:91]
	v_mul_f64 v[108:109], v[44:45], s[12:13]
	v_mul_f64 v[126:127], v[44:45], s[42:43]
	;; [unrolled: 1-line block ×3, first 2 shown]
	v_add_f64 v[84:85], v[84:85], v[114:115]
	v_add_f64 v[34:35], v[78:79], v[34:35]
	;; [unrolled: 1-line block ×3, first 2 shown]
	v_fma_f64 v[100:101], v[42:43], s[8:9], v[110:111]
	v_add_f64 v[36:37], v[80:81], v[36:37]
	v_fma_f64 v[80:81], v[120:121], s[14:15], v[132:133]
	v_add_f64 v[10:11], v[14:15], v[10:11]
	v_add_f64 v[8:9], v[12:13], v[8:9]
	v_fma_f64 v[114:115], v[120:121], s[14:15], -v[132:133]
	v_fma_f64 v[132:133], v[42:43], s[30:31], v[20:21]
	v_add_f64 v[12:13], v[76:77], v[30:31]
	v_fma_f64 v[76:77], v[42:43], s[16:17], v[110:111]
	v_fma_f64 v[110:111], v[120:121], s[28:29], v[24:25]
	v_add_f64 v[14:15], v[112:113], v[28:29]
	v_add_f64 v[20:21], v[46:47], v[38:39]
	v_add_f64 v[24:25], v[48:49], v[58:59]
	v_add_f64 v[28:29], v[136:137], v[54:55]
	v_add_f64 v[48:49], v[196:197], v[88:89]
	v_add_f64 v[58:59], v[140:141], v[102:103]
	v_mul_f64 v[130:131], v[44:45], s[36:37]
	v_mul_f64 v[82:83], v[82:83], s[22:23]
	;; [unrolled: 1-line block ×3, first 2 shown]
	v_add_f64 v[104:105], v[186:187], v[104:105]
	v_add_f64 v[26:27], v[188:189], v[26:27]
	;; [unrolled: 1-line block ×9, first 2 shown]
	v_fma_f64 v[32:33], v[120:121], s[42:43], v[164:165]
	v_add_f64 v[60:61], v[172:173], v[60:61]
	v_add_f64 v[64:65], v[174:175], v[64:65]
	v_add_f64 v[90:91], v[150:151], v[90:91]
	v_fma_f64 v[164:165], v[42:43], s[10:11], v[108:109]
	v_fma_f64 v[128:129], v[120:121], s[12:13], -v[128:129]
	v_fma_f64 v[74:75], v[120:121], s[36:37], v[166:167]
	v_fma_f64 v[166:167], v[120:121], s[36:37], -v[166:167]
	v_add_f64 v[38:39], v[194:195], v[86:87]
	v_add_f64 v[18:19], v[18:19], v[84:85]
	v_fma_f64 v[72:73], v[42:43], s[40:41], v[126:127]
	v_add_f64 v[34:35], v[118:119], v[34:35]
	v_add_f64 v[78:79], v[162:163], v[78:79]
	v_fma_f64 v[86:87], v[42:43], s[0:1], v[108:109]
	v_add_f64 v[88:89], v[8:9], v[4:5]
	v_add_f64 v[6:7], v[10:11], v[6:7]
	s_mul_i32 s1, s5, 0x4e0
	v_add_f64 v[92:93], v[134:135], v[12:13]
	s_mul_i32 s0, s4, 0x4e0
	v_add_f64 v[8:9], v[62:63], v[20:21]
	scratch_load_b32 v63, off, off offset:284 ; 4-byte Folded Reload
	v_add_f64 v[12:13], v[144:145], v[28:29]
	v_add_f64 v[28:29], v[80:81], v[58:59]
	v_fma_f64 v[116:117], v[42:43], s[38:39], v[130:131]
	v_fma_f64 v[148:149], v[120:121], s[20:21], v[82:83]
	;; [unrolled: 1-line block ×3, first 2 shown]
	v_fma_f64 v[82:83], v[120:121], s[20:21], -v[82:83]
	v_fma_f64 v[120:121], v[42:43], s[22:23], v[44:45]
	v_add_f64 v[26:27], v[180:181], v[26:27]
	v_add_f64 v[40:41], v[40:41], v[96:97]
	;; [unrolled: 1-line block ×3, first 2 shown]
	v_fma_f64 v[84:85], v[42:43], s[24:25], v[130:131]
	v_add_f64 v[68:69], v[124:125], v[98:99]
	v_add_f64 v[4:5], v[32:33], v[14:15]
	;; [unrolled: 1-line block ×9, first 2 shown]
	v_fma_f64 v[90:91], v[42:43], s[34:35], v[126:127]
	v_add_f64 v[14:15], v[164:165], v[30:31]
	v_add_f64 v[16:17], v[128:129], v[38:39]
	;; [unrolled: 1-line block ×5, first 2 shown]
	scratch_load_b64 v[0:1], off, off offset:84 ; 8-byte Folded Reload
	v_add_f64 v[36:37], v[110:111], v[26:27]
	v_add_f64 v[38:39], v[132:133], v[40:41]
	;; [unrolled: 1-line block ×17, first 2 shown]
	ds_store_b128 v51, v[12:15] offset:2496
	ds_store_b128 v51, v[20:23] offset:3744
	ds_store_b128 v51, v[28:31] offset:4992
	ds_store_b128 v51, v[36:39] offset:6240
	ds_store_b128 v51, v[44:47] offset:7488
	ds_store_b128 v51, v[52:55] offset:8736
	ds_store_b128 v51, v[40:43] offset:9984
	ds_store_b128 v51, v[32:35] offset:11232
	ds_store_b128 v51, v[24:27] offset:12480
	ds_store_b128 v51, v[16:19] offset:13728
	ds_store_b128 v51, v[8:11] offset:14976
	ds_store_b128 v51, v[56:59]
	ds_store_b128 v51, v[4:7] offset:1248
	s_waitcnt vmcnt(0) lgkmcnt(0)
	s_barrier
	buffer_gl0_inv
	ds_load_b128 v[8:11], v51 offset:2496
	ds_load_b128 v[4:7], v51 offset:1248
	v_mad_u64_u32 v[60:61], null, s4, v63, 0
	s_delay_alu instid0(VALU_DEP_1) | instskip(NEXT) | instid1(VALU_DEP_1)
	v_dual_mov_b32 v1, v61 :: v_dual_mov_b32 v50, v0
	v_mad_u64_u32 v[48:49], null, s6, v50, 0
	s_delay_alu instid0(VALU_DEP_1) | instskip(NEXT) | instid1(VALU_DEP_1)
	v_mov_b32_e32 v0, v49
	v_mad_u64_u32 v[2:3], null, s7, v50, v[0:1]
	s_delay_alu instid0(VALU_DEP_1)
	v_mov_b32_e32 v49, v2
	v_mad_u64_u32 v[61:62], null, s5, v63, v[1:2]
	ds_load_b128 v[0:3], v51
	ds_load_b128 v[12:15], v51 offset:3744
	ds_load_b128 v[16:19], v51 offset:4992
	;; [unrolled: 1-line block ×4, first 2 shown]
	v_lshlrev_b64 v[28:29], 4, v[48:49]
	s_mul_hi_u32 s5, s4, 0x4e0
	s_delay_alu instid0(SALU_CYCLE_1) | instskip(SKIP_1) | instid1(VALU_DEP_2)
	s_add_i32 s1, s5, s1
	v_lshlrev_b64 v[52:53], 4, v[60:61]
	v_add_co_u32 v82, vcc_lo, s2, v28
	s_delay_alu instid0(VALU_DEP_3)
	v_add_co_ci_u32_e32 v83, vcc_lo, s3, v29, vcc_lo
	ds_load_b128 v[28:31], v51 offset:8736
	ds_load_b128 v[32:35], v51 offset:9984
	;; [unrolled: 1-line block ×6, first 2 shown]
	s_clause 0x1
	scratch_load_b128 v[114:117], off, off offset:108
	scratch_load_b128 v[110:113], off, off offset:92
	v_add_co_u32 v52, vcc_lo, v82, v52
	v_add_co_ci_u32_e32 v53, vcc_lo, v83, v53, vcc_lo
	s_mov_b32 s2, 0xfc7729e9
	s_delay_alu instid0(VALU_DEP_2) | instskip(NEXT) | instid1(VALU_DEP_2)
	v_add_co_u32 v106, vcc_lo, v52, s0
	v_add_co_ci_u32_e32 v107, vcc_lo, s1, v53, vcc_lo
	s_mov_b32 s3, 0x3f502864
	s_delay_alu instid0(VALU_DEP_2) | instskip(NEXT) | instid1(VALU_DEP_2)
	v_add_co_u32 v108, vcc_lo, v106, s0
	v_add_co_ci_u32_e32 v109, vcc_lo, s1, v107, vcc_lo
	s_waitcnt vmcnt(1) lgkmcnt(10)
	v_mul_f64 v[54:55], v[116:117], v[2:3]
	v_mul_f64 v[56:57], v[116:117], v[0:1]
	scratch_load_b128 v[116:119], off, off offset:124 ; 16-byte Folded Reload
	s_waitcnt vmcnt(1)
	v_mul_f64 v[58:59], v[112:113], v[6:7]
	v_mul_f64 v[60:61], v[112:113], v[4:5]
	v_fma_f64 v[0:1], v[114:115], v[0:1], v[54:55]
	v_fma_f64 v[2:3], v[114:115], v[2:3], -v[56:57]
	v_add_co_u32 v54, vcc_lo, v108, s0
	v_fma_f64 v[4:5], v[110:111], v[4:5], v[58:59]
	v_fma_f64 v[6:7], v[110:111], v[6:7], -v[60:61]
	v_add_co_ci_u32_e32 v55, vcc_lo, s1, v109, vcc_lo
	s_delay_alu instid0(VALU_DEP_4) | instskip(NEXT) | instid1(VALU_DEP_2)
	v_add_co_u32 v56, vcc_lo, v54, s0
	v_add_co_ci_u32_e32 v57, vcc_lo, s1, v55, vcc_lo
	s_delay_alu instid0(VALU_DEP_2) | instskip(NEXT) | instid1(VALU_DEP_2)
	v_add_co_u32 v58, vcc_lo, v56, s0
	v_add_co_ci_u32_e32 v59, vcc_lo, s1, v57, vcc_lo
	s_delay_alu instid0(VALU_DEP_2) | instskip(NEXT) | instid1(VALU_DEP_2)
	v_add_co_u32 v60, vcc_lo, v58, s0
	v_add_co_ci_u32_e32 v61, vcc_lo, s1, v59, vcc_lo
	v_mul_f64 v[0:1], v[0:1], s[2:3]
	v_mul_f64 v[2:3], v[2:3], s[2:3]
	;; [unrolled: 1-line block ×4, first 2 shown]
	s_waitcnt vmcnt(0)
	v_mul_f64 v[62:63], v[118:119], v[10:11]
	v_mul_f64 v[64:65], v[118:119], v[8:9]
	scratch_load_b128 v[118:121], off, off offset:140 ; 16-byte Folded Reload
	v_fma_f64 v[8:9], v[116:117], v[8:9], v[62:63]
	v_fma_f64 v[10:11], v[116:117], v[10:11], -v[64:65]
	v_add_co_u32 v62, vcc_lo, v60, s0
	v_add_co_ci_u32_e32 v63, vcc_lo, s1, v61, vcc_lo
	s_delay_alu instid0(VALU_DEP_2) | instskip(NEXT) | instid1(VALU_DEP_2)
	v_add_co_u32 v64, vcc_lo, v62, s0
	v_add_co_ci_u32_e32 v65, vcc_lo, s1, v63, vcc_lo
	v_mul_f64 v[8:9], v[8:9], s[2:3]
	v_mul_f64 v[10:11], v[10:11], s[2:3]
	s_waitcnt vmcnt(0) lgkmcnt(9)
	v_mul_f64 v[66:67], v[120:121], v[14:15]
	v_mul_f64 v[68:69], v[120:121], v[12:13]
	scratch_load_b128 v[120:123], off, off offset:156 ; 16-byte Folded Reload
	v_fma_f64 v[12:13], v[118:119], v[12:13], v[66:67]
	v_fma_f64 v[14:15], v[118:119], v[14:15], -v[68:69]
	v_add_co_u32 v66, vcc_lo, v64, s0
	v_add_co_ci_u32_e32 v67, vcc_lo, s1, v65, vcc_lo
	s_delay_alu instid0(VALU_DEP_4) | instskip(NEXT) | instid1(VALU_DEP_4)
	v_mul_f64 v[12:13], v[12:13], s[2:3]
	v_mul_f64 v[14:15], v[14:15], s[2:3]
	s_waitcnt vmcnt(0) lgkmcnt(8)
	v_mul_f64 v[70:71], v[122:123], v[18:19]
	v_mul_f64 v[72:73], v[122:123], v[16:17]
	scratch_load_b128 v[122:125], off, off offset:172 ; 16-byte Folded Reload
	v_fma_f64 v[16:17], v[120:121], v[16:17], v[70:71]
	v_fma_f64 v[18:19], v[120:121], v[18:19], -v[72:73]
	s_delay_alu instid0(VALU_DEP_2) | instskip(NEXT) | instid1(VALU_DEP_2)
	v_mul_f64 v[16:17], v[16:17], s[2:3]
	v_mul_f64 v[18:19], v[18:19], s[2:3]
	s_waitcnt vmcnt(0) lgkmcnt(7)
	v_mul_f64 v[74:75], v[124:125], v[22:23]
	v_mul_f64 v[76:77], v[124:125], v[20:21]
	scratch_load_b128 v[124:127], off, off offset:188 ; 16-byte Folded Reload
	v_fma_f64 v[20:21], v[122:123], v[20:21], v[74:75]
	v_fma_f64 v[22:23], v[122:123], v[22:23], -v[76:77]
	s_delay_alu instid0(VALU_DEP_2) | instskip(NEXT) | instid1(VALU_DEP_2)
	v_mul_f64 v[20:21], v[20:21], s[2:3]
	v_mul_f64 v[22:23], v[22:23], s[2:3]
	s_waitcnt vmcnt(0) lgkmcnt(6)
	v_mul_f64 v[78:79], v[126:127], v[26:27]
	v_mul_f64 v[80:81], v[126:127], v[24:25]
	scratch_load_b128 v[126:129], off, off offset:204 ; 16-byte Folded Reload
	v_fma_f64 v[24:25], v[124:125], v[24:25], v[78:79]
	v_fma_f64 v[26:27], v[124:125], v[26:27], -v[80:81]
	s_delay_alu instid0(VALU_DEP_2) | instskip(NEXT) | instid1(VALU_DEP_2)
	v_mul_f64 v[24:25], v[24:25], s[2:3]
	v_mul_f64 v[26:27], v[26:27], s[2:3]
	s_waitcnt vmcnt(0) lgkmcnt(5)
	v_mul_f64 v[82:83], v[128:129], v[30:31]
	v_mul_f64 v[84:85], v[128:129], v[28:29]
	scratch_load_b128 v[128:131], off, off offset:220 ; 16-byte Folded Reload
	v_fma_f64 v[28:29], v[126:127], v[28:29], v[82:83]
	v_fma_f64 v[30:31], v[126:127], v[30:31], -v[84:85]
	s_delay_alu instid0(VALU_DEP_2) | instskip(NEXT) | instid1(VALU_DEP_2)
	v_mul_f64 v[28:29], v[28:29], s[2:3]
	v_mul_f64 v[30:31], v[30:31], s[2:3]
	s_waitcnt vmcnt(0) lgkmcnt(4)
	v_mul_f64 v[86:87], v[130:131], v[34:35]
	v_mul_f64 v[88:89], v[130:131], v[32:33]
	scratch_load_b128 v[130:133], off, off offset:236 ; 16-byte Folded Reload
	v_fma_f64 v[32:33], v[128:129], v[32:33], v[86:87]
	v_fma_f64 v[34:35], v[128:129], v[34:35], -v[88:89]
	s_delay_alu instid0(VALU_DEP_2) | instskip(NEXT) | instid1(VALU_DEP_2)
	v_mul_f64 v[32:33], v[32:33], s[2:3]
	v_mul_f64 v[34:35], v[34:35], s[2:3]
	s_waitcnt vmcnt(0) lgkmcnt(3)
	v_mul_f64 v[90:91], v[132:133], v[38:39]
	v_mul_f64 v[92:93], v[132:133], v[36:37]
	scratch_load_b128 v[132:135], off, off offset:252 ; 16-byte Folded Reload
	v_fma_f64 v[36:37], v[130:131], v[36:37], v[90:91]
	v_fma_f64 v[38:39], v[130:131], v[38:39], -v[92:93]
	s_delay_alu instid0(VALU_DEP_2) | instskip(NEXT) | instid1(VALU_DEP_2)
	v_mul_f64 v[36:37], v[36:37], s[2:3]
	v_mul_f64 v[38:39], v[38:39], s[2:3]
	s_waitcnt vmcnt(0) lgkmcnt(2)
	v_mul_f64 v[94:95], v[134:135], v[42:43]
	v_mul_f64 v[96:97], v[134:135], v[40:41]
	scratch_load_b128 v[134:137], off, off offset:268 ; 16-byte Folded Reload
	v_fma_f64 v[40:41], v[132:133], v[40:41], v[94:95]
	v_fma_f64 v[42:43], v[132:133], v[42:43], -v[96:97]
	s_delay_alu instid0(VALU_DEP_2) | instskip(NEXT) | instid1(VALU_DEP_2)
	v_mul_f64 v[40:41], v[40:41], s[2:3]
	v_mul_f64 v[42:43], v[42:43], s[2:3]
	s_waitcnt vmcnt(0) lgkmcnt(1)
	v_mul_f64 v[98:99], v[136:137], v[46:47]
	v_mul_f64 v[100:101], v[136:137], v[44:45]
	scratch_load_b128 v[136:139], off, off offset:288 ; 16-byte Folded Reload
	s_clause 0x4
	global_store_b128 v[52:53], v[0:3], off
	global_store_b128 v[106:107], v[4:7], off
	;; [unrolled: 1-line block ×6, first 2 shown]
	v_add_co_u32 v0, vcc_lo, v66, s0
	v_add_co_ci_u32_e32 v1, vcc_lo, s1, v67, vcc_lo
	global_store_b128 v[60:61], v[24:27], off
	v_add_co_u32 v2, vcc_lo, v0, s0
	v_add_co_ci_u32_e32 v3, vcc_lo, s1, v1, vcc_lo
	global_store_b128 v[62:63], v[28:31], off
	v_add_co_u32 v4, vcc_lo, v2, s0
	v_add_co_ci_u32_e32 v5, vcc_lo, s1, v3, vcc_lo
	v_fma_f64 v[44:45], v[134:135], v[44:45], v[98:99]
	v_fma_f64 v[46:47], v[134:135], v[46:47], -v[100:101]
	s_delay_alu instid0(VALU_DEP_2) | instskip(NEXT) | instid1(VALU_DEP_2)
	v_mul_f64 v[44:45], v[44:45], s[2:3]
	v_mul_f64 v[46:47], v[46:47], s[2:3]
	s_waitcnt vmcnt(0) lgkmcnt(0)
	v_mul_f64 v[102:103], v[138:139], v[50:51]
	v_mul_f64 v[104:105], v[138:139], v[48:49]
	s_delay_alu instid0(VALU_DEP_2) | instskip(NEXT) | instid1(VALU_DEP_2)
	v_fma_f64 v[48:49], v[136:137], v[48:49], v[102:103]
	v_fma_f64 v[50:51], v[136:137], v[50:51], -v[104:105]
	s_delay_alu instid0(VALU_DEP_2) | instskip(NEXT) | instid1(VALU_DEP_2)
	v_mul_f64 v[48:49], v[48:49], s[2:3]
	v_mul_f64 v[50:51], v[50:51], s[2:3]
	global_store_b128 v[64:65], v[32:35], off
	global_store_b128 v[66:67], v[36:39], off
	;; [unrolled: 1-line block ×5, first 2 shown]
.LBB0_10:
	s_nop 0
	s_sendmsg sendmsg(MSG_DEALLOC_VGPRS)
	s_endpgm
	.section	.rodata,"a",@progbits
	.p2align	6, 0x0
	.amdhsa_kernel bluestein_single_back_len1014_dim1_dp_op_CI_CI
		.amdhsa_group_segment_fixed_size 32448
		.amdhsa_private_segment_fixed_size 392
		.amdhsa_kernarg_size 104
		.amdhsa_user_sgpr_count 15
		.amdhsa_user_sgpr_dispatch_ptr 0
		.amdhsa_user_sgpr_queue_ptr 0
		.amdhsa_user_sgpr_kernarg_segment_ptr 1
		.amdhsa_user_sgpr_dispatch_id 0
		.amdhsa_user_sgpr_private_segment_size 0
		.amdhsa_wavefront_size32 1
		.amdhsa_uses_dynamic_stack 0
		.amdhsa_enable_private_segment 1
		.amdhsa_system_sgpr_workgroup_id_x 1
		.amdhsa_system_sgpr_workgroup_id_y 0
		.amdhsa_system_sgpr_workgroup_id_z 0
		.amdhsa_system_sgpr_workgroup_info 0
		.amdhsa_system_vgpr_workitem_id 0
		.amdhsa_next_free_vgpr 256
		.amdhsa_next_free_sgpr 46
		.amdhsa_reserve_vcc 1
		.amdhsa_float_round_mode_32 0
		.amdhsa_float_round_mode_16_64 0
		.amdhsa_float_denorm_mode_32 3
		.amdhsa_float_denorm_mode_16_64 3
		.amdhsa_dx10_clamp 1
		.amdhsa_ieee_mode 1
		.amdhsa_fp16_overflow 0
		.amdhsa_workgroup_processor_mode 1
		.amdhsa_memory_ordered 1
		.amdhsa_forward_progress 0
		.amdhsa_shared_vgpr_count 0
		.amdhsa_exception_fp_ieee_invalid_op 0
		.amdhsa_exception_fp_denorm_src 0
		.amdhsa_exception_fp_ieee_div_zero 0
		.amdhsa_exception_fp_ieee_overflow 0
		.amdhsa_exception_fp_ieee_underflow 0
		.amdhsa_exception_fp_ieee_inexact 0
		.amdhsa_exception_int_div_zero 0
	.end_amdhsa_kernel
	.text
.Lfunc_end0:
	.size	bluestein_single_back_len1014_dim1_dp_op_CI_CI, .Lfunc_end0-bluestein_single_back_len1014_dim1_dp_op_CI_CI
                                        ; -- End function
	.section	.AMDGPU.csdata,"",@progbits
; Kernel info:
; codeLenInByte = 25644
; NumSgprs: 48
; NumVgprs: 256
; ScratchSize: 392
; MemoryBound: 0
; FloatMode: 240
; IeeeMode: 1
; LDSByteSize: 32448 bytes/workgroup (compile time only)
; SGPRBlocks: 5
; VGPRBlocks: 31
; NumSGPRsForWavesPerEU: 48
; NumVGPRsForWavesPerEU: 256
; Occupancy: 5
; WaveLimiterHint : 1
; COMPUTE_PGM_RSRC2:SCRATCH_EN: 1
; COMPUTE_PGM_RSRC2:USER_SGPR: 15
; COMPUTE_PGM_RSRC2:TRAP_HANDLER: 0
; COMPUTE_PGM_RSRC2:TGID_X_EN: 1
; COMPUTE_PGM_RSRC2:TGID_Y_EN: 0
; COMPUTE_PGM_RSRC2:TGID_Z_EN: 0
; COMPUTE_PGM_RSRC2:TIDIG_COMP_CNT: 0
	.text
	.p2alignl 7, 3214868480
	.fill 96, 4, 3214868480
	.type	__hip_cuid_6e7c866feebea01,@object ; @__hip_cuid_6e7c866feebea01
	.section	.bss,"aw",@nobits
	.globl	__hip_cuid_6e7c866feebea01
__hip_cuid_6e7c866feebea01:
	.byte	0                               ; 0x0
	.size	__hip_cuid_6e7c866feebea01, 1

	.ident	"AMD clang version 19.0.0git (https://github.com/RadeonOpenCompute/llvm-project roc-6.4.0 25133 c7fe45cf4b819c5991fe208aaa96edf142730f1d)"
	.section	".note.GNU-stack","",@progbits
	.addrsig
	.addrsig_sym __hip_cuid_6e7c866feebea01
	.amdgpu_metadata
---
amdhsa.kernels:
  - .args:
      - .actual_access:  read_only
        .address_space:  global
        .offset:         0
        .size:           8
        .value_kind:     global_buffer
      - .actual_access:  read_only
        .address_space:  global
        .offset:         8
        .size:           8
        .value_kind:     global_buffer
      - .actual_access:  read_only
        .address_space:  global
        .offset:         16
        .size:           8
        .value_kind:     global_buffer
      - .actual_access:  read_only
        .address_space:  global
        .offset:         24
        .size:           8
        .value_kind:     global_buffer
      - .actual_access:  read_only
        .address_space:  global
        .offset:         32
        .size:           8
        .value_kind:     global_buffer
      - .offset:         40
        .size:           8
        .value_kind:     by_value
      - .address_space:  global
        .offset:         48
        .size:           8
        .value_kind:     global_buffer
      - .address_space:  global
        .offset:         56
        .size:           8
        .value_kind:     global_buffer
      - .address_space:  global
        .offset:         64
        .size:           8
        .value_kind:     global_buffer
      - .address_space:  global
        .offset:         72
        .size:           8
        .value_kind:     global_buffer
      - .offset:         80
        .size:           4
        .value_kind:     by_value
      - .address_space:  global
        .offset:         88
        .size:           8
        .value_kind:     global_buffer
      - .address_space:  global
        .offset:         96
        .size:           8
        .value_kind:     global_buffer
    .group_segment_fixed_size: 32448
    .kernarg_segment_align: 8
    .kernarg_segment_size: 104
    .language:       OpenCL C
    .language_version:
      - 2
      - 0
    .max_flat_workgroup_size: 156
    .name:           bluestein_single_back_len1014_dim1_dp_op_CI_CI
    .private_segment_fixed_size: 392
    .sgpr_count:     48
    .sgpr_spill_count: 0
    .symbol:         bluestein_single_back_len1014_dim1_dp_op_CI_CI.kd
    .uniform_work_group_size: 1
    .uses_dynamic_stack: false
    .vgpr_count:     256
    .vgpr_spill_count: 117
    .wavefront_size: 32
    .workgroup_processor_mode: 1
amdhsa.target:   amdgcn-amd-amdhsa--gfx1100
amdhsa.version:
  - 1
  - 2
...

	.end_amdgpu_metadata
